;; amdgpu-corpus repo=ROCm/aiter kind=harvested arch=n/a opt=n/a

/root/src/amdgpu-assembly/repos/ROCm__aiter/hsa/gfx942/fmoe_2stages/fmoe_stage1_bf16_pertokenInt8_g1u1_32x384_pf3.co:	file format elf64-amdgpu

Disassembly of section .text:

0000000000002c00 <_ZN5aiter45fmoe_stage1_bf16_pertokenInt8_g1u1_32x384_pf3E>:
	s_and_b32 s1, s1, 0xffff                                   // 000000002C00: 8601FF01 0000FFFF
	s_load_dwordx2 s[8:9], s[0:1], 0x0                         // 000000002C08: C0060200 00000000
	s_load_dwordx2 s[20:21], s[0:1], 0x10                      // 000000002C10: C0060500 00000010
	s_load_dwordx2 s[24:25], s[0:1], 0x20                      // 000000002C18: C0060600 00000020
	s_load_dwordx2 s[48:49], s[0:1], 0x30                      // 000000002C20: C0060C00 00000030
	s_load_dwordx2 s[28:29], s[0:1], 0x40                      // 000000002C28: C0060700 00000040
	s_load_dwordx2 s[32:33], s[0:1], 0x50                      // 000000002C30: C0060800 00000050
	s_load_dwordx2 s[36:37], s[0:1], 0x60                      // 000000002C38: C0060900 00000060
	s_load_dwordx2 s[12:13], s[0:1], 0x70                      // 000000002C40: C0060300 00000070
	s_load_dwordx2 s[44:45], s[0:1], 0x80                      // 000000002C48: C0060B00 00000080
	s_mov_b32 s89, 0                                           // 000000002C50: BED90080
	s_load_dword s64, s[0:1], 0x90                             // 000000002C54: C0021000 00000090
	s_load_dword s65, s[0:1], 0xa0                             // 000000002C5C: C0021040 000000A0
	s_load_dword s66, s[0:1], 0xb0                             // 000000002C64: C0021080 000000B0
	s_load_dword s67, s[0:1], 0xc0                             // 000000002C6C: C00210C0 000000C0
	s_load_dword s68, s[0:1], 0xd0                             // 000000002C74: C0021100 000000D0
	s_load_dword s69, s[0:1], 0xe0                             // 000000002C7C: C0021140 000000E0
	s_load_dword s71, s[0:1], 0xf0                             // 000000002C84: C00211C0 000000F0
	s_load_dword s72, s[0:1], 0x100                            // 000000002C8C: C0021200 00000100
	s_load_dword s74, s[0:1], 0x110                            // 000000002C94: C0021280 00000110
	s_load_dword s76, s[0:1], 0x120                            // 000000002C9C: C0021300 00000120
	s_load_dword s56, s[0:1], 0x130                            // 000000002CA4: C0020E00 00000130
	s_load_dword s88, s[0:1], 0x140                            // 000000002CAC: C0021600 00000140
	s_load_dword s89, s[0:1], 0x150                            // 000000002CB4: C0021640 00000150
	v_lshrrev_b32_e32 v1, 10, v0                               // 000000002CBC: 2002008A
	v_lshrrev_b32_e32 v2, 10, v1                               // 000000002CC0: 2004028A
	v_and_b32_e32 v2, 0x3ff, v2                                // 000000002CC4: 260404FF 000003FF
	v_and_b32_e32 v1, 0x3ff, v1                                // 000000002CCC: 260202FF 000003FF
	v_and_b32_e32 v0, 0x3ff, v0                                // 000000002CD4: 260000FF 000003FF
	v_lshrrev_b32_e32 v3, 6, v0                                // 000000002CDC: 20060086
	v_and_b32_e32 v0, 63, v0                                   // 000000002CE0: 260000BF
	s_mov_b32 s2, s2                                           // 000000002CE4: BE820002
	s_mov_b32 s3, s3                                           // 000000002CE8: BE830003
	s_mov_b32 s4, s4                                           // 000000002CEC: BE840004
	v_readfirstlane_b32 s7, v3                                 // 000000002CF0: 7E0E0503
	s_waitcnt lgkmcnt(0)                                       // 000000002CF4: BF8CC07F
	s_and_b32 s49, s49, 0xffff                                 // 000000002CF8: 8631FF31 0000FFFF
	s_load_dword s48, s[48:49], 0x0                            // 000000002D00: C0020C18 00000000
	s_and_b32 s45, s45, 0xffff                                 // 000000002D08: 862DFF2D 0000FFFF
	s_and_b32 s9, s9, 0xffff                                   // 000000002D10: 8609FF09 0000FFFF
	s_mul_i32 s60, s66, s68                                    // 000000002D18: 923C4442
	s_mul_i32 s61, s66, 4                                      // 000000002D1C: 923D8442
	s_mov_b32 s22, s60                                         // 000000002D20: BE96003C
	s_mov_b32 s26, -16                                         // 000000002D24: BE9A00D0
	s_mov_b32 s30, s61                                         // 000000002D28: BE9E003D
	s_mov_b32 s14, 0x80                                        // 000000002D2C: BE8E00FF 00000080
	s_mov_b32 s38, -16                                         // 000000002D34: BEA600D0
	s_mov_b32 s10, -16                                         // 000000002D38: BE8A00D0
	s_mov_b32 s34, 0x600                                       // 000000002D3C: BEA200FF 00000600
	s_mov_b32 s23, 0x20000                                     // 000000002D44: BE9700FF 00020000
	s_mov_b32 s27, 0x20000                                     // 000000002D4C: BE9B00FF 00020000
	s_mov_b32 s31, 0x20000                                     // 000000002D54: BE9F00FF 00020000
	s_mov_b32 s35, 0x20000                                     // 000000002D5C: BEA300FF 00020000
	s_mov_b32 s15, 0x20000                                     // 000000002D64: BE8F00FF 00020000
	s_mov_b32 s39, 0x20000                                     // 000000002D6C: BEA700FF 00020000
	s_mov_b32 s11, 0x20000                                     // 000000002D74: BE8B00FF 00020000
	s_and_b32 s21, s21, 0xffff                                 // 000000002D7C: 8615FF15 0000FFFF
	s_and_b32 s25, s25, 0xffff                                 // 000000002D84: 8619FF19 0000FFFF
	s_and_b32 s29, s29, 0xffff                                 // 000000002D8C: 861DFF1D 0000FFFF
	s_and_b32 s33, s33, 0xffff                                 // 000000002D94: 8621FF21 0000FFFF
	s_and_b32 s13, s13, 0xffff                                 // 000000002D9C: 860DFF0D 0000FFFF
	s_and_b32 s37, s37, 0xffff                                 // 000000002DA4: 8625FF25 0000FFFF
	s_or_b32 s21, s21, 0x40000                                 // 000000002DAC: 8715FF15 00040000
	s_or_b32 s25, s25, 0x40000                                 // 000000002DB4: 8719FF19 00040000
	s_or_b32 s29, s29, 0x40000                                 // 000000002DBC: 871DFF1D 00040000
	s_or_b32 s33, s33, 0x40000                                 // 000000002DC4: 8721FF21 00040000
	s_or_b32 s13, s13, 0x40000                                 // 000000002DCC: 870DFF0D 00040000
	s_or_b32 s37, s37, 0x40000                                 // 000000002DD4: 8725FF25 00040000
	v_accvgpr_write_b32 a175, 0                                // 000000002DDC: D3D940AF 18000080
	v_mov_b32_e32 v147, 0                                      // 000000002DE4: 7F260280
	s_waitcnt lgkmcnt(0)                                       // 000000002DE8: BF8CC07F
	s_mul_i32 s60, s3, 32                                      // 000000002DEC: 923CA003
	s_cmp_lt_i32 s60, s48                                      // 000000002DF0: BF04303C
	s_cbranch_scc0 label_2547                                  // 000000002DF4: BF8424C6
	s_mov_b32 s80, 0                                           // 000000002DF8: BED00080
	s_lshr_b32 s81, s64, s88                                   // 000000002DFC: 8F515840
	s_mul_i32 s60, s3, 4                                       // 000000002E00: 923C8403
	s_add_u32 s44, s60, s44                                    // 000000002E04: 802C2C3C
	s_addc_u32 s45, 0, s45                                     // 000000002E08: 822D2D80
	s_load_dword s5, s[44:45], 0x0                             // 000000002E0C: C0020156 00000000
	s_mul_i32 s60, s3, 32                                      // 000000002E14: 923CA003
	s_mul_i32 s60, 4, s60                                      // 000000002E18: 923C3C84
	s_add_u32 s12, s60, s12                                    // 000000002E1C: 800C0C3C
	s_addc_u32 s13, 0, s13                                     // 000000002E20: 820D0D80
	v_and_b32_e32 v4, 15, v0                                   // 000000002E24: 2608008F
	v_lshlrev_b32_e32 v4, 2, v4                                // 000000002E28: 24080882
	buffer_load_dword v31, v4, s[12:15], 0 offen               // 000000002E2C: E0501000 80031F04
	v_add_u32_e32 v4, 64, v4                                   // 000000002E34: 680808C0
	buffer_load_dword v32, v4, s[12:15], 0 offen               // 000000002E38: E0501000 80032004
	v_add_u32_e32 v4, 64, v4                                   // 000000002E40: 680808C0
	s_mul_i32 s60, 4, s7                                       // 000000002E44: 923C0784
	v_lshlrev_b32_e32 v4, 4, v0                                // 000000002E48: 24080084
	v_add_u32_e32 v4, s60, v4                                  // 000000002E4C: 6808083C
	buffer_load_dword v3, v4, s[12:15], 0 offen                // 000000002E50: E0501000 80030304
	v_mov_b32_e32 v52, 0                                       // 000000002E58: 7E680280
	v_mov_b32_e32 v100, 0                                      // 000000002E5C: 7EC80280
	v_mov_b32_e32 v53, 0                                       // 000000002E60: 7E6A0280
	v_mov_b32_e32 v101, 0                                      // 000000002E64: 7ECA0280
	v_mov_b32_e32 v54, 0                                       // 000000002E68: 7E6C0280
	v_mov_b32_e32 v102, 0                                      // 000000002E6C: 7ECC0280
	v_mov_b32_e32 v55, 0                                       // 000000002E70: 7E6E0280
	v_mov_b32_e32 v103, 0                                      // 000000002E74: 7ECE0280
	v_mov_b32_e32 v56, 0                                       // 000000002E78: 7E700280
	v_mov_b32_e32 v104, 0                                      // 000000002E7C: 7ED00280
	v_mov_b32_e32 v57, 0                                       // 000000002E80: 7E720280
	v_mov_b32_e32 v105, 0                                      // 000000002E84: 7ED20280
	v_mov_b32_e32 v58, 0                                       // 000000002E88: 7E740280
	v_mov_b32_e32 v106, 0                                      // 000000002E8C: 7ED40280
	v_mov_b32_e32 v59, 0                                       // 000000002E90: 7E760280
	v_mov_b32_e32 v107, 0                                      // 000000002E94: 7ED60280
	v_mov_b32_e32 v60, 0                                       // 000000002E98: 7E780280
	v_mov_b32_e32 v108, 0                                      // 000000002E9C: 7ED80280
	v_mov_b32_e32 v61, 0                                       // 000000002EA0: 7E7A0280
	v_mov_b32_e32 v109, 0                                      // 000000002EA4: 7EDA0280
	v_mov_b32_e32 v62, 0                                       // 000000002EA8: 7E7C0280
	v_mov_b32_e32 v110, 0                                      // 000000002EAC: 7EDC0280
	v_mov_b32_e32 v63, 0                                       // 000000002EB0: 7E7E0280
	v_mov_b32_e32 v111, 0                                      // 000000002EB4: 7EDE0280
	v_mov_b32_e32 v64, 0                                       // 000000002EB8: 7E800280
	v_mov_b32_e32 v112, 0                                      // 000000002EBC: 7EE00280
	v_mov_b32_e32 v65, 0                                       // 000000002EC0: 7E820280
	v_mov_b32_e32 v113, 0                                      // 000000002EC4: 7EE20280
	v_mov_b32_e32 v66, 0                                       // 000000002EC8: 7E840280
	v_mov_b32_e32 v114, 0                                      // 000000002ECC: 7EE40280
	v_mov_b32_e32 v67, 0                                       // 000000002ED0: 7E860280
	v_mov_b32_e32 v115, 0                                      // 000000002ED4: 7EE60280
	v_mov_b32_e32 v68, 0                                       // 000000002ED8: 7E880280
	v_mov_b32_e32 v116, 0                                      // 000000002EDC: 7EE80280
	v_mov_b32_e32 v69, 0                                       // 000000002EE0: 7E8A0280
	v_mov_b32_e32 v117, 0                                      // 000000002EE4: 7EEA0280
	v_mov_b32_e32 v70, 0                                       // 000000002EE8: 7E8C0280
	v_mov_b32_e32 v118, 0                                      // 000000002EEC: 7EEC0280
	v_mov_b32_e32 v71, 0                                       // 000000002EF0: 7E8E0280
	v_mov_b32_e32 v119, 0                                      // 000000002EF4: 7EEE0280
	v_mov_b32_e32 v72, 0                                       // 000000002EF8: 7E900280
	v_mov_b32_e32 v120, 0                                      // 000000002EFC: 7EF00280
	v_mov_b32_e32 v73, 0                                       // 000000002F00: 7E920280
	v_mov_b32_e32 v121, 0                                      // 000000002F04: 7EF20280
	v_mov_b32_e32 v74, 0                                       // 000000002F08: 7E940280
	v_mov_b32_e32 v122, 0                                      // 000000002F0C: 7EF40280
	v_mov_b32_e32 v75, 0                                       // 000000002F10: 7E960280
	v_mov_b32_e32 v123, 0                                      // 000000002F14: 7EF60280
	v_mov_b32_e32 v76, 0                                       // 000000002F18: 7E980280
	v_mov_b32_e32 v124, 0                                      // 000000002F1C: 7EF80280
	v_mov_b32_e32 v77, 0                                       // 000000002F20: 7E9A0280
	v_mov_b32_e32 v125, 0                                      // 000000002F24: 7EFA0280
	v_mov_b32_e32 v78, 0                                       // 000000002F28: 7E9C0280
	v_mov_b32_e32 v126, 0                                      // 000000002F2C: 7EFC0280
	v_mov_b32_e32 v79, 0                                       // 000000002F30: 7E9E0280
	v_mov_b32_e32 v127, 0                                      // 000000002F34: 7EFE0280
	v_mov_b32_e32 v80, 0                                       // 000000002F38: 7EA00280
	v_mov_b32_e32 v128, 0                                      // 000000002F3C: 7F000280
	v_mov_b32_e32 v81, 0                                       // 000000002F40: 7EA20280
	v_mov_b32_e32 v129, 0                                      // 000000002F44: 7F020280
	v_mov_b32_e32 v82, 0                                       // 000000002F48: 7EA40280
	v_mov_b32_e32 v130, 0                                      // 000000002F4C: 7F040280
	v_mov_b32_e32 v83, 0                                       // 000000002F50: 7EA60280
	v_mov_b32_e32 v131, 0                                      // 000000002F54: 7F060280
	v_mov_b32_e32 v84, 0                                       // 000000002F58: 7EA80280
	v_mov_b32_e32 v132, 0                                      // 000000002F5C: 7F080280
	v_mov_b32_e32 v85, 0                                       // 000000002F60: 7EAA0280
	v_mov_b32_e32 v133, 0                                      // 000000002F64: 7F0A0280
	v_mov_b32_e32 v86, 0                                       // 000000002F68: 7EAC0280
	v_mov_b32_e32 v134, 0                                      // 000000002F6C: 7F0C0280
	v_mov_b32_e32 v87, 0                                       // 000000002F70: 7EAE0280
	v_mov_b32_e32 v135, 0                                      // 000000002F74: 7F0E0280
	v_mov_b32_e32 v88, 0                                       // 000000002F78: 7EB00280
	v_mov_b32_e32 v136, 0                                      // 000000002F7C: 7F100280
	v_mov_b32_e32 v89, 0                                       // 000000002F80: 7EB20280
	v_mov_b32_e32 v137, 0                                      // 000000002F84: 7F120280
	v_mov_b32_e32 v90, 0                                       // 000000002F88: 7EB40280
	v_mov_b32_e32 v138, 0                                      // 000000002F8C: 7F140280
	v_mov_b32_e32 v91, 0                                       // 000000002F90: 7EB60280
	v_mov_b32_e32 v139, 0                                      // 000000002F94: 7F160280
	v_mov_b32_e32 v92, 0                                       // 000000002F98: 7EB80280
	v_mov_b32_e32 v140, 0                                      // 000000002F9C: 7F180280
	v_mov_b32_e32 v93, 0                                       // 000000002FA0: 7EBA0280
	v_mov_b32_e32 v141, 0                                      // 000000002FA4: 7F1A0280
	v_mov_b32_e32 v94, 0                                       // 000000002FA8: 7EBC0280
	v_mov_b32_e32 v142, 0                                      // 000000002FAC: 7F1C0280
	v_mov_b32_e32 v95, 0                                       // 000000002FB0: 7EBE0280
	v_mov_b32_e32 v143, 0                                      // 000000002FB4: 7F1E0280
	v_mov_b32_e32 v96, 0                                       // 000000002FB8: 7EC00280
	v_mov_b32_e32 v144, 0                                      // 000000002FBC: 7F200280
	v_mov_b32_e32 v97, 0                                       // 000000002FC0: 7EC20280
	v_mov_b32_e32 v145, 0                                      // 000000002FC4: 7F220280
	v_mov_b32_e32 v98, 0                                       // 000000002FC8: 7EC40280
	v_mov_b32_e32 v146, 0                                      // 000000002FCC: 7F240280
	v_mov_b32_e32 v99, 0                                       // 000000002FD0: 7EC60280
	v_mov_b32_e32 v147, 0                                      // 000000002FD4: 7F260280
	s_mul_i32 s60, s2, 0x300                                   // 000000002FD8: 923CFF02 00000300
	s_cmp_eq_u32 s88, 0                                        // 000000002FE0: BF068058
	s_cselect_b32 s61, 1, 2                                    // 000000002FE4: 853D8281
	s_mul_i32 s60, s60, s61                                    // 000000002FE8: 923C3D3C
	s_mov_b32 s90, s8                                          // 000000002FEC: BEDA0008
	s_mov_b32 s91, s9                                          // 000000002FF0: BEDB0009
	s_add_u32 s8, s60, s8                                      // 000000002FF4: 8008083C
	s_addc_u32 s9, 0, s9                                       // 000000002FF8: 82090980
	v_lshrrev_b32_e32 v4, 4, v0                                // 000000002FFC: 20080084
	v_mul_lo_u32 v20, 34, v4                                   // 000000003000: D2850014 000208A2
	v_and_b32_e32 v4, 15, v0                                   // 000000003008: 2608008F
	v_mul_lo_u32 v5, 2, v4                                     // 00000000300C: D2850005 00020882
	v_add_u32_e32 v20, v5, v20                                 // 000000003014: 68282905
	s_mul_i32 s60, s7, 0x88                                    // 000000003018: 923CFF07 00000088
	v_add_u32_e32 v20, s60, v20                                // 000000003020: 6828283C
	v_lshlrev_b32_e32 v20, 2, v20                              // 000000003024: 24282882
	v_and_b32_e32 v4, 31, v0                                   // 000000003028: 2608009F
	v_lshrrev_b32_e32 v4, 1, v4                                // 00000000302C: 20080881
	v_mul_lo_u32 v21, 34, v4                                   // 000000003030: D2850015 000208A2
	v_lshrrev_b32_e32 v4, 5, v0                                // 000000003038: 20080085
	v_mul_lo_u32 v4, 8, v4                                     // 00000000303C: D2850004 00020888
	v_add_u32_e32 v21, v21, v4                                 // 000000003044: 682A0915
	v_and_b32_e32 v5, 1, v0                                    // 000000003048: 260A0081
	v_add_u32_e32 v21, v5, v21                                 // 00000000304C: 682A2B05
	s_mul_i32 s60, s7, 2                                       // 000000003050: 923C8207
	v_add_u32_e32 v21, s60, v21                                // 000000003054: 682A2A3C
	v_lshlrev_b32_e32 v21, 2, v21                              // 000000003058: 242A2A82
	s_mul_i32 s60, s7, 0x420                                   // 00000000305C: 923CFF07 00000420
	s_add_u32 s48, 0, s60                                      // 000000003064: 80303C80
	s_add_u32 s49, 0x1080, s48                                 // 000000003068: 803130FF 00001080
	s_add_u32 s50, 0x1080, s49                                 // 000000003070: 803231FF 00001080
	v_lshrrev_b32_e32 v4, 4, v0                                // 000000003078: 20080084
	v_lshlrev_b32_e32 v5, 2, v4                                // 00000000307C: 240A0882
	v_and_b32_e32 v4, 15, v0                                   // 000000003080: 2608008F
	v_lshrrev_b32_e32 v6, 2, v4                                // 000000003084: 200C0882
	v_lshlrev_b32_e32 v6, 5, v6                                // 000000003088: 240C0C85
	v_add_u32_e32 v5, v6, v5                                   // 00000000308C: 680A0B06
	v_and_b32_e32 v4, 3, v0                                    // 000000003090: 26080083
	v_mul_u32_u24_e32 v6, 0x108, v4                            // 000000003094: 100C08FF 00000108
	v_add_u32_e32 v5, v6, v5                                   // 00000000309C: 680A0B06
	v_lshlrev_b32_e32 v2, 2, v5                                // 0000000030A0: 24040A82
	s_waitcnt lgkmcnt(0)                                       // 0000000030A4: BF8CC07F
	s_mul_i32 s60, s2, 0x180                                   // 0000000030A8: 923CFF02 00000180
	s_mul_i32 s60, s60, s69                                    // 0000000030B0: 923C453C
	s_mul_i32 s61, s5, s72                                     // 0000000030B4: 923D4805
	s_add_u32 s60, s61, s60                                    // 0000000030B8: 803C3C3D
	s_add_u32 s24, s60, s24                                    // 0000000030BC: 8018183C
	s_addc_u32 s25, 0, s25                                     // 0000000030C0: 82191980
	s_lshr_b32 s60, s64, s88                                   // 0000000030C4: 8F3C5840
	s_mul_i32 s60, s4, s60                                     // 0000000030C8: 923C3C04
	s_lshr_b32 s60, s60, 7                                     // 0000000030CC: 8F3C873C
	s_mul_i32 s60, s60, 0x800                                  // 0000000030D0: 923CFF3C 00000800
	s_add_u32 s24, s60, s24                                    // 0000000030D8: 8018183C
	s_addc_u32 s25, 0, s25                                     // 0000000030DC: 82191980
	s_lshr_b32 s60, s69, s88                                   // 0000000030E0: 8F3C5845
	s_mul_i32 s60, s4, s60                                     // 0000000030E4: 923C3C04
	s_add_u32 s20, s60, s20                                    // 0000000030E8: 8014143C
	s_addc_u32 s21, 0, s21                                     // 0000000030EC: 82151580
	s_mul_i32 s60, s7, 16                                      // 0000000030F0: 923C9007
	s_mul_i32 s60, s60, s69                                    // 0000000030F4: 923C453C
	v_lshlrev_b32_e32 v43, 4, v0                               // 0000000030F8: 24560084
	v_add_u32_e32 v43, s60, v43                                // 0000000030FC: 6856563C
	s_mul_i32 s60, 64, s69                                     // 000000003100: 923C45C0
	v_add_u32_e32 v44, s60, v43                                // 000000003104: 6858563C
	v_add_u32_e32 v45, s60, v44                                // 000000003108: 685A583C
	v_add_u32_e32 v46, s60, v45                                // 00000000310C: 685C5A3C
	v_add_u32_e32 v47, s60, v46                                // 000000003110: 685E5C3C
	v_add_u32_e32 v48, s60, v47                                // 000000003114: 68605E3C
	s_mov_b32 s84, s24                                         // 000000003118: BED40018
	s_mov_b32 s85, s25                                         // 00000000311C: BED50019
	s_mov_b32 s86, s26                                         // 000000003120: BED6001A
	s_mov_b32 s87, s27                                         // 000000003124: BED7001B
	s_mul_i32 s60, s69, s65                                    // 000000003128: 923C4145
	s_add_u32 s84, s60, s84                                    // 00000000312C: 8054543C
	s_addc_u32 s85, 0, s85                                     // 000000003130: 82555580
	v_lshrrev_b32_e32 v4, 4, v0                                // 000000003134: 20080084
	v_lshlrev_b32_e32 v5, 2, v4                                // 000000003138: 240A0882
	v_and_b32_e32 v4, 15, v0                                   // 00000000313C: 2608008F
	v_lshrrev_b32_e32 v6, 2, v4                                // 000000003140: 200C0882
	v_lshlrev_b32_e32 v6, 6, v6                                // 000000003144: 240C0C86
	v_add_u32_e32 v5, v6, v5                                   // 000000003148: 680A0B06
	v_and_b32_e32 v4, 3, v0                                    // 00000000314C: 26080083
	v_add_u32_e32 v5, v4, v5                                   // 000000003150: 680A0B04
	v_lshlrev_b32_e32 v22, 2, v5                               // 000000003154: 242C0A82
	v_add_u32_e32 v23, 0x400, v22                              // 000000003158: 682E2CFF 00000400
	s_mul_i32 s60, s7, 16                                      // 000000003160: 923C9007
	s_mul_i32 s60, s60, 4                                      // 000000003164: 923C843C
	v_add_u32_e32 v22, s60, v22                                // 000000003168: 682C2C3C
	v_add_u32_e32 v23, s60, v23                                // 00000000316C: 682E2E3C
	s_mul_i32 s60, s2, 0x180                                   // 000000003170: 923CFF02 00000180
	s_mul_i32 s60, s60, 4                                      // 000000003178: 923C843C
	s_mul_i32 s61, s5, s74                                     // 00000000317C: 923D4A05
	s_add_u32 s61, s61, s60                                    // 000000003180: 803D3C3D
	s_add_u32 s32, s61, s32                                    // 000000003184: 8020203D
	s_addc_u32 s33, 0, s33                                     // 000000003188: 82212180
	s_mov_b32 s57, 0x80                                        // 00000000318C: BEB900FF 00000080
	s_mov_b32 s58, 0x800                                       // 000000003194: BEBA00FF 00000800
	s_mov_b32 s83, s58                                         // 00000000319C: BED3003A
	s_mov_b32 s52, 0x7060302                                   // 0000000031A0: BEB400FF 07060302
	s_mov_b32 s53, 0x400                                       // 0000000031A8: BEB500FF 00000400
	s_mov_b32 s54, 0x40100                                     // 0000000031B0: BEB600FF 00040100
	s_mov_b32 s55, 0x4020100                                   // 0000000031B8: BEB700FF 04020100
	s_mov_b32 s6, 0x3fb8aa3b                                   // 0000000031C0: BE8600FF 3FB8AA3B
	s_mov_b32 s78, 0xbd92220c                                  // 0000000031C8: BECE00FF BD92220C
	s_mov_b32 s79, 0xbd92220c                                  // 0000000031D0: BECF00FF BD92220C
	s_mov_b32 m0, s48                                          // 0000000031D8: BEFC0030
	v_mov_b32_e32 v1, 0xbfcc4231                               // 0000000031DC: 7E0202FF BFCC4231
	v_mov_b32_e32 v17, 0xffff0000                              // 0000000031E4: 7E2202FF FFFF0000
	v_mov_b32_e32 v18, 0x7fff0000                              // 0000000031EC: 7E2402FF 7FFF0000
	v_mov_b32_e32 v19, 0x7fff                                  // 0000000031F4: 7E2602FF 00007FFF
	s_waitcnt vmcnt(0) expcnt(0) lgkmcnt(0)                    // 0000000031FC: BF8C0000
	v_lshrrev_b32_e32 v4, 5, v0                                // 000000003200: 20080085
	v_xor_b32_e32 v5, 1, v4                                    // 000000003204: 2A0A0881
	v_readlane_b32 s82, v3, 0                                  // 000000003208: D2890052 00010103
	s_and_b32 s82, s82, 0xffffff                               // 000000003210: 8652FF52 00FFFFFF
	v_mul_lo_u32 v6, v5, s82                                   // 000000003218: D2850006 0000A505
	v_readlane_b32 s82, v3, 1                                  // 000000003220: D2890052 00010303
	s_and_b32 s82, s82, 0xffffff                               // 000000003228: 8652FF52 00FFFFFF
	v_mul_lo_u32 v7, v4, s82                                   // 000000003230: D2850007 0000A504
	v_add_u32_e32 v39, v6, v7                                  // 000000003238: 684E0F06
	v_mul_lo_u32 v39, v39, s68                                 // 00000000323C: D2850027 00008927
	v_readlane_b32 s82, v3, 2                                  // 000000003244: D2890052 00010503
	s_and_b32 s82, s82, 0xffffff                               // 00000000324C: 8652FF52 00FFFFFF
	v_mul_lo_u32 v6, v5, s82                                   // 000000003254: D2850006 0000A505
	v_readlane_b32 s82, v3, 3                                  // 00000000325C: D2890052 00010703
	s_and_b32 s82, s82, 0xffffff                               // 000000003264: 8652FF52 00FFFFFF
	v_mul_lo_u32 v7, v4, s82                                   // 00000000326C: D2850007 0000A504
	v_add_u32_e32 v40, v6, v7                                  // 000000003274: 68500F06
	v_mul_lo_u32 v40, v40, s68                                 // 000000003278: D2850028 00008928
	v_readlane_b32 s82, v3, 4                                  // 000000003280: D2890052 00010903
	s_and_b32 s82, s82, 0xffffff                               // 000000003288: 8652FF52 00FFFFFF
	v_mul_lo_u32 v6, v5, s82                                   // 000000003290: D2850006 0000A505
	v_readlane_b32 s82, v3, 5                                  // 000000003298: D2890052 00010B03
	s_and_b32 s82, s82, 0xffffff                               // 0000000032A0: 8652FF52 00FFFFFF
	v_mul_lo_u32 v7, v4, s82                                   // 0000000032A8: D2850007 0000A504
	v_add_u32_e32 v41, v6, v7                                  // 0000000032B0: 68520F06
	v_mul_lo_u32 v41, v41, s68                                 // 0000000032B4: D2850029 00008929
	v_readlane_b32 s82, v3, 6                                  // 0000000032BC: D2890052 00010D03
	s_and_b32 s82, s82, 0xffffff                               // 0000000032C4: 8652FF52 00FFFFFF
	v_mul_lo_u32 v6, v5, s82                                   // 0000000032CC: D2850006 0000A505
	v_readlane_b32 s82, v3, 7                                  // 0000000032D4: D2890052 00010F03
	s_and_b32 s82, s82, 0xffffff                               // 0000000032DC: 8652FF52 00FFFFFF
	v_mul_lo_u32 v7, v4, s82                                   // 0000000032E4: D2850007 0000A504
	v_add_u32_e32 v42, v6, v7                                  // 0000000032EC: 68540F06
	v_mul_lo_u32 v42, v42, s68                                 // 0000000032F0: D285002A 0000892A
	v_and_b32_e32 v4, 31, v0                                   // 0000000032F8: 2608009F
	v_lshlrev_b32_e32 v4, 2, v4                                // 0000000032FC: 24080882
	v_add_u32_e32 v39, v39, v4                                 // 000000003300: 684E0927
	v_add_u32_e32 v40, v40, v4                                 // 000000003304: 68500928
	v_add_u32_e32 v41, v41, v4                                 // 000000003308: 68520929
	v_add_u32_e32 v42, v42, v4                                 // 00000000330C: 6854092A
	v_and_b32_e32 v31, 0xffffff, v31                           // 000000003310: 263E3EFF 00FFFFFF
	v_lshlrev_b32_e32 v31, 2, v31                              // 000000003318: 243E3E82
	v_and_b32_e32 v32, 0xffffff, v32                           // 00000000331C: 264040FF 00FFFFFF
	v_lshlrev_b32_e32 v32, 2, v32                              // 000000003324: 24404082
	s_lshl_b32 s3, s66, 2                                      // 000000003328: 8E038242
	buffer_load_dword v33, v31, s[28:31], 0 offen              // 00000000332C: E0501000 8007211F
	buffer_load_dword v34, v32, s[28:31], 0 offen              // 000000003334: E0501000 80072220
	buffer_load_dword v25, v22, s[32:35], 0 offen              // 00000000333C: E0501000 80081916
	buffer_load_dword v26, v23, s[32:35], 0 offen              // 000000003344: E0501000 80081A17
	s_mul_i32 s60, 4, s65                                      // 00000000334C: 923C4184
	s_add_u32 s32, s60, s32                                    // 000000003350: 8020203C
	s_addc_u32 s33, 0, s33                                     // 000000003354: 82212180
	buffer_load_dword v28, v22, s[32:35], 0 offen              // 000000003358: E0501000 80081C16
	buffer_load_dword v29, v23, s[32:35], 0 offen              // 000000003360: E0501000 80081D17
	buffer_load_dword v39, s[20:23], 0 offen lds               // 000000003368: E0511000 80050027
	s_add_u32 m0, 0x100, s48                                   // 000000003370: 807C30FF 00000100
	buffer_load_dword v40, s[20:23], 0 offen lds               // 000000003378: E0511000 80050028
	s_add_u32 m0, 0x200, s48                                   // 000000003380: 807C30FF 00000200
	;; [unrolled: 2-line block ×3, first 2 shown]
	buffer_load_dword v42, s[20:23], 0 offen lds               // 000000003398: E0511000 8005002A
	s_add_u32 m0, 0, s49                                       // 0000000033A0: 807C3180
	s_add_u32 s20, s57, s20                                    // 0000000033A4: 80141439
	s_addc_u32 s21, 0, s21                                     // 0000000033A8: 82151580
	buffer_load_dwordx4 a[32:35], v43, s[24:27], 0 offen       // 0000000033AC: E05C1000 8086202B
	buffer_load_dwordx4 a[36:39], v43, s[24:27], 0 offen offset:1024// 0000000033B4: E05C1400 8086242B
	buffer_load_dwordx4 a[40:43], v44, s[24:27], 0 offen       // 0000000033BC: E05C1000 8086282C
	buffer_load_dwordx4 a[44:47], v44, s[24:27], 0 offen offset:1024// 0000000033C4: E05C1400 80862C2C
	buffer_load_dwordx4 a[48:51], v45, s[24:27], 0 offen       // 0000000033CC: E05C1000 8086302D
	buffer_load_dwordx4 a[52:55], v45, s[24:27], 0 offen offset:1024// 0000000033D4: E05C1400 8086342D
	buffer_load_dwordx4 a[56:59], v46, s[24:27], 0 offen       // 0000000033DC: E05C1000 8086382E
	buffer_load_dwordx4 a[60:63], v46, s[24:27], 0 offen offset:1024// 0000000033E4: E05C1400 80863C2E
	buffer_load_dwordx4 a[64:67], v47, s[24:27], 0 offen       // 0000000033EC: E05C1000 8086402F
	buffer_load_dwordx4 a[68:71], v47, s[24:27], 0 offen offset:1024// 0000000033F4: E05C1400 8086442F
	buffer_load_dwordx4 a[72:75], v48, s[24:27], 0 offen       // 0000000033FC: E05C1000 80864830
	buffer_load_dwordx4 a[76:79], v48, s[24:27], 0 offen offset:1024// 000000003404: E05C1400 80864C30
	s_add_u32 s24, s58, s24                                    // 00000000340C: 8018183A
	s_addc_u32 s25, 0, s25                                     // 000000003410: 82191980
	buffer_load_dword v39, s[20:23], 0 offen lds               // 000000003414: E0511000 80050027
	s_add_u32 m0, 0x100, s49                                   // 00000000341C: 807C31FF 00000100
	buffer_load_dword v40, s[20:23], 0 offen lds               // 000000003424: E0511000 80050028
	s_add_u32 m0, 0x200, s49                                   // 00000000342C: 807C31FF 00000200
	buffer_load_dword v41, s[20:23], 0 offen lds               // 000000003434: E0511000 80050029
	s_add_u32 m0, 0x300, s49                                   // 00000000343C: 807C31FF 00000300
	buffer_load_dword v42, s[20:23], 0 offen lds               // 000000003444: E0511000 8005002A
	s_add_u32 m0, 0, s50                                       // 00000000344C: 807C3280
	s_add_u32 s20, s57, s20                                    // 000000003450: 80141439
	s_addc_u32 s21, 0, s21                                     // 000000003454: 82151580
	buffer_load_dwordx4 a[80:83], v43, s[84:87], 0 offen       // 000000003458: E05C1000 8095502B
	buffer_load_dwordx4 a[84:87], v43, s[84:87], 0 offen offset:1024// 000000003460: E05C1400 8095542B
	buffer_load_dwordx4 a[88:91], v44, s[84:87], 0 offen       // 000000003468: E05C1000 8095582C
	buffer_load_dwordx4 a[92:95], v44, s[84:87], 0 offen offset:1024// 000000003470: E05C1400 80955C2C
	buffer_load_dwordx4 a[96:99], v45, s[84:87], 0 offen       // 000000003478: E05C1000 8095602D
	buffer_load_dwordx4 a[100:103], v45, s[84:87], 0 offen offset:1024// 000000003480: E05C1400 8095642D
	buffer_load_dwordx4 a[104:107], v46, s[84:87], 0 offen     // 000000003488: E05C1000 8095682E
	buffer_load_dwordx4 a[108:111], v46, s[84:87], 0 offen offset:1024// 000000003490: E05C1400 80956C2E
	buffer_load_dwordx4 a[112:115], v47, s[84:87], 0 offen     // 000000003498: E05C1000 8095702F
	buffer_load_dwordx4 a[116:119], v47, s[84:87], 0 offen offset:1024// 0000000034A0: E05C1400 8095742F
	buffer_load_dwordx4 a[120:123], v48, s[84:87], 0 offen     // 0000000034A8: E05C1000 80957830
	buffer_load_dwordx4 a[124:127], v48, s[84:87], 0 offen offset:1024// 0000000034B0: E05C1400 80957C30
	s_add_u32 s84, s83, s84                                    // 0000000034B8: 80545453
	s_addc_u32 s85, 0, s85                                     // 0000000034BC: 82555580
	s_waitcnt vmcnt(28)                                        // 0000000034C0: BF8C4F7C
	s_barrier                                                  // 0000000034C4: BF8A0000
	ds_read_b128 a[0:3], v2                                    // 0000000034C8: DBFE0000 00000002
	ds_read_b128 a[4:7], v2 offset:64                          // 0000000034D0: DBFE0040 04000002
	ds_read_b128 a[8:11], v2 offset:512                        // 0000000034D8: DBFE0200 08000002
	ds_read_b128 a[12:15], v2 offset:576                       // 0000000034E0: DBFE0240 0C000002
	s_cmp_lt_i32 s7, 2                                         // 0000000034E8: BF048207
	s_cbranch_scc0 label_13C3                                  // 0000000034EC: BF841184

00000000000034f0 <label_023C>:
	s_waitcnt vmcnt(16) lgkmcnt(0)                             // 0000000034F0: BF8C4070
	v_mfma_i32_16x16x32_i8 v[52:55], a[32:33], a[0:1], v[52:55]// 0000000034F4: D3D70034 1CD20120
	v_mfma_i32_16x16x32_i8 v[52:55], a[34:35], a[2:3], v[52:55]// 0000000034FC: D3D70034 1CD20522
	buffer_load_dwordx4 a[128:131], v43, s[24:27], 0 offen     // 000000003504: E05C1000 8086802B
	v_mfma_i32_16x16x32_i8 v[52:55], a[36:37], a[4:5], v[52:55]// 00000000350C: D3D70034 1CD20924
	v_mfma_i32_16x16x32_i8 v[52:55], a[38:39], a[6:7], v[52:55]// 000000003514: D3D70034 1CD20D26
	v_mfma_i32_16x16x32_i8 v[60:63], a[40:41], a[0:1], v[60:63]// 00000000351C: D3D7003C 1CF20128
	v_mfma_i32_16x16x32_i8 v[60:63], a[42:43], a[2:3], v[60:63]// 000000003524: D3D7003C 1CF2052A
	buffer_load_dwordx4 a[132:135], v43, s[24:27], 0 offen offset:1024// 00000000352C: E05C1400 8086842B
	v_mfma_i32_16x16x32_i8 v[60:63], a[44:45], a[4:5], v[60:63]// 000000003534: D3D7003C 1CF2092C
	v_mfma_i32_16x16x32_i8 v[60:63], a[46:47], a[6:7], v[60:63]// 00000000353C: D3D7003C 1CF20D2E
	v_mfma_i32_16x16x32_i8 v[68:71], a[48:49], a[0:1], v[68:71]// 000000003544: D3D70044 1D120130
	v_mfma_i32_16x16x32_i8 v[68:71], a[50:51], a[2:3], v[68:71]// 00000000354C: D3D70044 1D120532
	buffer_load_dwordx4 a[136:139], v44, s[24:27], 0 offen     // 000000003554: E05C1000 8086882C
	v_mfma_i32_16x16x32_i8 v[68:71], a[52:53], a[4:5], v[68:71]// 00000000355C: D3D70044 1D120934
	v_mfma_i32_16x16x32_i8 v[68:71], a[54:55], a[6:7], v[68:71]// 000000003564: D3D70044 1D120D36
	v_mfma_i32_16x16x32_i8 v[76:79], a[56:57], a[0:1], v[76:79]// 00000000356C: D3D7004C 1D320138
	v_mfma_i32_16x16x32_i8 v[76:79], a[58:59], a[2:3], v[76:79]// 000000003574: D3D7004C 1D32053A
	buffer_load_dwordx4 a[140:143], v44, s[24:27], 0 offen offset:1024// 00000000357C: E05C1400 80868C2C
	v_mfma_i32_16x16x32_i8 v[76:79], a[60:61], a[4:5], v[76:79]// 000000003584: D3D7004C 1D32093C
	v_mfma_i32_16x16x32_i8 v[76:79], a[62:63], a[6:7], v[76:79]// 00000000358C: D3D7004C 1D320D3E
	v_mfma_i32_16x16x32_i8 v[84:87], a[64:65], a[0:1], v[84:87]// 000000003594: D3D70054 1D520140
	v_mfma_i32_16x16x32_i8 v[84:87], a[66:67], a[2:3], v[84:87]// 00000000359C: D3D70054 1D520542
	buffer_load_dwordx4 a[144:147], v45, s[24:27], 0 offen     // 0000000035A4: E05C1000 8086902D
	v_mfma_i32_16x16x32_i8 v[84:87], a[68:69], a[4:5], v[84:87]// 0000000035AC: D3D70054 1D520944
	v_mfma_i32_16x16x32_i8 v[84:87], a[70:71], a[6:7], v[84:87]// 0000000035B4: D3D70054 1D520D46
	v_mfma_i32_16x16x32_i8 v[92:95], a[72:73], a[0:1], v[92:95]// 0000000035BC: D3D7005C 1D720148
	v_mfma_i32_16x16x32_i8 v[92:95], a[74:75], a[2:3], v[92:95]// 0000000035C4: D3D7005C 1D72054A
	buffer_load_dwordx4 a[148:151], v45, s[24:27], 0 offen offset:1024// 0000000035CC: E05C1400 8086942D
	v_mfma_i32_16x16x32_i8 v[92:95], a[76:77], a[4:5], v[92:95]// 0000000035D4: D3D7005C 1D72094C
	v_mfma_i32_16x16x32_i8 v[92:95], a[78:79], a[6:7], v[92:95]// 0000000035DC: D3D7005C 1D720D4E
	v_mfma_i32_16x16x32_i8 v[56:59], a[32:33], a[8:9], v[56:59]// 0000000035E4: D3D70038 1CE21120
	v_mfma_i32_16x16x32_i8 v[56:59], a[34:35], a[10:11], v[56:59]// 0000000035EC: D3D70038 1CE21522
	buffer_load_dwordx4 a[152:155], v46, s[24:27], 0 offen     // 0000000035F4: E05C1000 8086982E
	v_mfma_i32_16x16x32_i8 v[56:59], a[36:37], a[12:13], v[56:59]// 0000000035FC: D3D70038 1CE21924
	v_mfma_i32_16x16x32_i8 v[56:59], a[38:39], a[14:15], v[56:59]// 000000003604: D3D70038 1CE21D26
	v_mfma_i32_16x16x32_i8 v[64:67], a[40:41], a[8:9], v[64:67]// 00000000360C: D3D70040 1D021128
	v_mfma_i32_16x16x32_i8 v[64:67], a[42:43], a[10:11], v[64:67]// 000000003614: D3D70040 1D02152A
	buffer_load_dwordx4 a[156:159], v46, s[24:27], 0 offen offset:1024// 00000000361C: E05C1400 80869C2E
	v_mfma_i32_16x16x32_i8 v[64:67], a[44:45], a[12:13], v[64:67]// 000000003624: D3D70040 1D02192C
	v_mfma_i32_16x16x32_i8 v[64:67], a[46:47], a[14:15], v[64:67]// 00000000362C: D3D70040 1D021D2E
	v_mfma_i32_16x16x32_i8 v[72:75], a[48:49], a[8:9], v[72:75]// 000000003634: D3D70048 1D221130
	v_mfma_i32_16x16x32_i8 v[72:75], a[50:51], a[10:11], v[72:75]// 00000000363C: D3D70048 1D221532
	buffer_load_dwordx4 a[160:163], v47, s[24:27], 0 offen     // 000000003644: E05C1000 8086A02F
	v_mfma_i32_16x16x32_i8 v[72:75], a[52:53], a[12:13], v[72:75]// 00000000364C: D3D70048 1D221934
	v_mfma_i32_16x16x32_i8 v[72:75], a[54:55], a[14:15], v[72:75]// 000000003654: D3D70048 1D221D36
	v_mfma_i32_16x16x32_i8 v[80:83], a[56:57], a[8:9], v[80:83]// 00000000365C: D3D70050 1D421138
	v_mfma_i32_16x16x32_i8 v[80:83], a[58:59], a[10:11], v[80:83]// 000000003664: D3D70050 1D42153A
	buffer_load_dwordx4 a[164:167], v47, s[24:27], 0 offen offset:1024// 00000000366C: E05C1400 8086A42F
	v_mfma_i32_16x16x32_i8 v[80:83], a[60:61], a[12:13], v[80:83]// 000000003674: D3D70050 1D42193C
	v_mfma_i32_16x16x32_i8 v[80:83], a[62:63], a[14:15], v[80:83]// 00000000367C: D3D70050 1D421D3E
	v_mfma_i32_16x16x32_i8 v[88:91], a[64:65], a[8:9], v[88:91]// 000000003684: D3D70058 1D621140
	v_mfma_i32_16x16x32_i8 v[88:91], a[66:67], a[10:11], v[88:91]// 00000000368C: D3D70058 1D621542
	buffer_load_dwordx4 a[168:171], v48, s[24:27], 0 offen     // 000000003694: E05C1000 8086A830
	v_mfma_i32_16x16x32_i8 v[88:91], a[68:69], a[12:13], v[88:91]// 00000000369C: D3D70058 1D621944
	v_mfma_i32_16x16x32_i8 v[88:91], a[70:71], a[14:15], v[88:91]// 0000000036A4: D3D70058 1D621D46
	v_mfma_i32_16x16x32_i8 v[96:99], a[72:73], a[8:9], v[96:99]// 0000000036AC: D3D70060 1D821148
	v_mfma_i32_16x16x32_i8 v[96:99], a[74:75], a[10:11], v[96:99]// 0000000036B4: D3D70060 1D82154A
	buffer_load_dwordx4 a[172:175], v48, s[24:27], 0 offen offset:1024// 0000000036BC: E05C1400 8086AC30
	buffer_load_dword v39, s[20:23], 0 offen lds               // 0000000036C4: E0511000 80050027
	s_add_u32 m0, 0x100, s50                                   // 0000000036CC: 807C32FF 00000100
	v_mfma_i32_16x16x32_i8 v[96:99], a[76:77], a[12:13], v[96:99]// 0000000036D4: D3D70060 1D82194C
	v_mfma_i32_16x16x32_i8 v[96:99], a[78:79], a[14:15], v[96:99]// 0000000036DC: D3D70060 1D821D4E
	buffer_load_dword v40, s[20:23], 0 offen lds               // 0000000036E4: E0511000 80050028
	s_add_u32 m0, 0x200, s50                                   // 0000000036EC: 807C32FF 00000200
	buffer_load_dword v41, s[20:23], 0 offen lds               // 0000000036F4: E0511000 80050029
	s_add_u32 m0, 0x300, s50                                   // 0000000036FC: 807C32FF 00000300
	buffer_load_dword v42, s[20:23], 0 offen lds               // 000000003704: E0511000 8005002A
	s_add_u32 m0, 0, s48                                       // 00000000370C: 807C3080
	s_waitcnt vmcnt(16)                                        // 000000003710: BF8C4F70
	s_barrier                                                  // 000000003714: BF8A0000
	v_mfma_i32_16x16x32_i8 v[100:103], a[80:81], a[0:1], v[100:103]// 000000003718: D3D70064 1D920150
	v_mfma_i32_16x16x32_i8 v[100:103], a[82:83], a[2:3], v[100:103]// 000000003720: D3D70064 1D920552
	buffer_load_dwordx4 a[32:35], v43, s[84:87], 0 offen       // 000000003728: E05C1000 8095202B
	v_mfma_i32_16x16x32_i8 v[100:103], a[84:85], a[4:5], v[100:103]// 000000003730: D3D70064 1D920954
	v_mfma_i32_16x16x32_i8 v[100:103], a[86:87], a[6:7], v[100:103]// 000000003738: D3D70064 1D920D56
	ds_read_b128 a[16:19], v2 offset:4224                      // 000000003740: DBFE1080 10000002
	ds_read_b128 a[20:23], v2 offset:4288                      // 000000003748: DBFE10C0 14000002
	v_mfma_i32_16x16x32_i8 v[108:111], a[88:89], a[0:1], v[108:111]// 000000003750: D3D7006C 1DB20158
	v_mfma_i32_16x16x32_i8 v[108:111], a[90:91], a[2:3], v[108:111]// 000000003758: D3D7006C 1DB2055A
	buffer_load_dwordx4 a[36:39], v43, s[84:87], 0 offen offset:1024// 000000003760: E05C1400 8095242B
	v_mfma_i32_16x16x32_i8 v[108:111], a[92:93], a[4:5], v[108:111]// 000000003768: D3D7006C 1DB2095C
	v_mfma_i32_16x16x32_i8 v[108:111], a[94:95], a[6:7], v[108:111]// 000000003770: D3D7006C 1DB20D5E
	ds_read_b128 a[24:27], v2 offset:4736                      // 000000003778: DBFE1280 18000002
	ds_read_b128 a[28:31], v2 offset:4800                      // 000000003780: DBFE12C0 1C000002
	v_mfma_i32_16x16x32_i8 v[116:119], a[96:97], a[0:1], v[116:119]// 000000003788: D3D70074 1DD20160
	v_mfma_i32_16x16x32_i8 v[116:119], a[98:99], a[2:3], v[116:119]// 000000003790: D3D70074 1DD20562
	buffer_load_dwordx4 a[40:43], v44, s[84:87], 0 offen       // 000000003798: E05C1000 8095282C
	v_mfma_i32_16x16x32_i8 v[116:119], a[100:101], a[4:5], v[116:119]// 0000000037A0: D3D70074 1DD20964
	v_mfma_i32_16x16x32_i8 v[116:119], a[102:103], a[6:7], v[116:119]// 0000000037A8: D3D70074 1DD20D66
	v_mfma_i32_16x16x32_i8 v[124:127], a[104:105], a[0:1], v[124:127]// 0000000037B0: D3D7007C 1DF20168
	v_mfma_i32_16x16x32_i8 v[124:127], a[106:107], a[2:3], v[124:127]// 0000000037B8: D3D7007C 1DF2056A
	buffer_load_dwordx4 a[44:47], v44, s[84:87], 0 offen offset:1024// 0000000037C0: E05C1400 80952C2C
	v_mfma_i32_16x16x32_i8 v[124:127], a[108:109], a[4:5], v[124:127]// 0000000037C8: D3D7007C 1DF2096C
	v_mfma_i32_16x16x32_i8 v[124:127], a[110:111], a[6:7], v[124:127]// 0000000037D0: D3D7007C 1DF20D6E
	v_mfma_i32_16x16x32_i8 v[132:135], a[112:113], a[0:1], v[132:135]// 0000000037D8: D3D70084 1E120170
	v_mfma_i32_16x16x32_i8 v[132:135], a[114:115], a[2:3], v[132:135]// 0000000037E0: D3D70084 1E120572
	buffer_load_dwordx4 a[48:51], v45, s[84:87], 0 offen       // 0000000037E8: E05C1000 8095302D
	v_mfma_i32_16x16x32_i8 v[132:135], a[116:117], a[4:5], v[132:135]// 0000000037F0: D3D70084 1E120974
	v_mfma_i32_16x16x32_i8 v[132:135], a[118:119], a[6:7], v[132:135]// 0000000037F8: D3D70084 1E120D76
	v_mfma_i32_16x16x32_i8 v[140:143], a[120:121], a[0:1], v[140:143]// 000000003800: D3D7008C 1E320178
	v_mfma_i32_16x16x32_i8 v[140:143], a[122:123], a[2:3], v[140:143]// 000000003808: D3D7008C 1E32057A
	buffer_load_dwordx4 a[52:55], v45, s[84:87], 0 offen offset:1024// 000000003810: E05C1400 8095342D
	v_mfma_i32_16x16x32_i8 v[140:143], a[124:125], a[4:5], v[140:143]// 000000003818: D3D7008C 1E32097C
	v_mfma_i32_16x16x32_i8 v[140:143], a[126:127], a[6:7], v[140:143]// 000000003820: D3D7008C 1E320D7E
	v_mfma_i32_16x16x32_i8 v[104:107], a[80:81], a[8:9], v[104:107]// 000000003828: D3D70068 1DA21150
	v_mfma_i32_16x16x32_i8 v[104:107], a[82:83], a[10:11], v[104:107]// 000000003830: D3D70068 1DA21552
	buffer_load_dwordx4 a[56:59], v46, s[84:87], 0 offen       // 000000003838: E05C1000 8095382E
	v_mfma_i32_16x16x32_i8 v[104:107], a[84:85], a[12:13], v[104:107]// 000000003840: D3D70068 1DA21954
	v_mfma_i32_16x16x32_i8 v[104:107], a[86:87], a[14:15], v[104:107]// 000000003848: D3D70068 1DA21D56
	v_mfma_i32_16x16x32_i8 v[112:115], a[88:89], a[8:9], v[112:115]// 000000003850: D3D70070 1DC21158
	v_mfma_i32_16x16x32_i8 v[112:115], a[90:91], a[10:11], v[112:115]// 000000003858: D3D70070 1DC2155A
	buffer_load_dwordx4 a[60:63], v46, s[84:87], 0 offen offset:1024// 000000003860: E05C1400 80953C2E
	v_mfma_i32_16x16x32_i8 v[112:115], a[92:93], a[12:13], v[112:115]// 000000003868: D3D70070 1DC2195C
	v_mfma_i32_16x16x32_i8 v[112:115], a[94:95], a[14:15], v[112:115]// 000000003870: D3D70070 1DC21D5E
	v_mfma_i32_16x16x32_i8 v[120:123], a[96:97], a[8:9], v[120:123]// 000000003878: D3D70078 1DE21160
	v_mfma_i32_16x16x32_i8 v[120:123], a[98:99], a[10:11], v[120:123]// 000000003880: D3D70078 1DE21562
	buffer_load_dwordx4 a[64:67], v47, s[84:87], 0 offen       // 000000003888: E05C1000 8095402F
	v_mfma_i32_16x16x32_i8 v[120:123], a[100:101], a[12:13], v[120:123]// 000000003890: D3D70078 1DE21964
	v_mfma_i32_16x16x32_i8 v[120:123], a[102:103], a[14:15], v[120:123]// 000000003898: D3D70078 1DE21D66
	v_mfma_i32_16x16x32_i8 v[128:131], a[104:105], a[8:9], v[128:131]// 0000000038A0: D3D70080 1E021168
	v_mfma_i32_16x16x32_i8 v[128:131], a[106:107], a[10:11], v[128:131]// 0000000038A8: D3D70080 1E02156A
	buffer_load_dwordx4 a[68:71], v47, s[84:87], 0 offen offset:1024// 0000000038B0: E05C1400 8095442F
	v_mfma_i32_16x16x32_i8 v[128:131], a[108:109], a[12:13], v[128:131]// 0000000038B8: D3D70080 1E02196C
	v_mfma_i32_16x16x32_i8 v[128:131], a[110:111], a[14:15], v[128:131]// 0000000038C0: D3D70080 1E021D6E
	v_mfma_i32_16x16x32_i8 v[136:139], a[112:113], a[8:9], v[136:139]// 0000000038C8: D3D70088 1E221170
	s_add_u32 s60, 0x180, s80                                  // 0000000038D0: 803C50FF 00000180
	s_cmp_lt_u32 s60, s81                                      // 0000000038D8: BF0A513C
	s_cselect_b32 s57, s57, 0                                  // 0000000038DC: 85398039
	v_mfma_i32_16x16x32_i8 v[136:139], a[114:115], a[10:11], v[136:139]// 0000000038E0: D3D70088 1E221572
	buffer_load_dwordx4 a[72:75], v48, s[84:87], 0 offen       // 0000000038E8: E05C1000 80954830
	s_add_u32 s60, 0x100, s80                                  // 0000000038F0: 803C50FF 00000100
	s_cmp_lt_u32 s60, s81                                      // 0000000038F8: BF0A513C
	s_cselect_b32 s58, s58, 0                                  // 0000000038FC: 853A803A
	v_mfma_i32_16x16x32_i8 v[136:139], a[116:117], a[12:13], v[136:139]// 000000003900: D3D70088 1E221974
	s_add_u32 s60, 0x100, s80                                  // 000000003908: 803C50FF 00000100
	s_cmp_lt_u32 s60, s81                                      // 000000003910: BF0A513C
	s_cselect_b32 s83, s83, 0                                  // 000000003914: 85538053
	v_mfma_i32_16x16x32_i8 v[136:139], a[118:119], a[14:15], v[136:139]// 000000003918: D3D70088 1E221D76
	s_add_u32 s24, s58, s24                                    // 000000003920: 8018183A
	s_addc_u32 s25, 0, s25                                     // 000000003924: 82191980
	v_mfma_i32_16x16x32_i8 v[144:147], a[120:121], a[8:9], v[144:147]// 000000003928: D3D70090 1E421178
	s_add_u32 s20, s57, s20                                    // 000000003930: 80141439
	s_addc_u32 s21, 0, s21                                     // 000000003934: 82151580
	v_mfma_i32_16x16x32_i8 v[144:147], a[122:123], a[10:11], v[144:147]// 000000003938: D3D70090 1E42157A
	buffer_load_dwordx4 a[76:79], v48, s[84:87], 0 offen offset:1024// 000000003940: E05C1400 80954C30
	s_add_u32 s84, s83, s84                                    // 000000003948: 80545453
	s_addc_u32 s85, 0, s85                                     // 00000000394C: 82555580
	v_mfma_i32_16x16x32_i8 v[144:147], a[124:125], a[12:13], v[144:147]// 000000003950: D3D70090 1E42197C
	v_mfma_i32_16x16x32_i8 v[144:147], a[126:127], a[14:15], v[144:147]// 000000003958: D3D70090 1E421D7E
	s_addk_i32 s80, 0x80                                       // 000000003960: B7500080
	s_cmp_lt_i32 s80, s81                                      // 000000003964: BF045150
	s_cbranch_scc0 label_08F7                                  // 000000003968: BF84059C
	s_waitcnt vmcnt(16) lgkmcnt(0)                             // 00000000396C: BF8C4070
	v_mfma_i32_16x16x32_i8 v[52:55], a[128:129], a[16:17], v[52:55]// 000000003970: D3D70034 1CD22180
	v_mfma_i32_16x16x32_i8 v[52:55], a[130:131], a[18:19], v[52:55]// 000000003978: D3D70034 1CD22582
	buffer_load_dwordx4 a[80:83], v43, s[24:27], 0 offen       // 000000003980: E05C1000 8086502B
	v_mfma_i32_16x16x32_i8 v[52:55], a[132:133], a[20:21], v[52:55]// 000000003988: D3D70034 1CD22984
	v_mfma_i32_16x16x32_i8 v[52:55], a[134:135], a[22:23], v[52:55]// 000000003990: D3D70034 1CD22D86
	v_mfma_i32_16x16x32_i8 v[60:63], a[136:137], a[16:17], v[60:63]// 000000003998: D3D7003C 1CF22188
	v_mfma_i32_16x16x32_i8 v[60:63], a[138:139], a[18:19], v[60:63]// 0000000039A0: D3D7003C 1CF2258A
	buffer_load_dwordx4 a[84:87], v43, s[24:27], 0 offen offset:1024// 0000000039A8: E05C1400 8086542B
	v_mfma_i32_16x16x32_i8 v[60:63], a[140:141], a[20:21], v[60:63]// 0000000039B0: D3D7003C 1CF2298C
	v_mfma_i32_16x16x32_i8 v[60:63], a[142:143], a[22:23], v[60:63]// 0000000039B8: D3D7003C 1CF22D8E
	v_mfma_i32_16x16x32_i8 v[68:71], a[144:145], a[16:17], v[68:71]// 0000000039C0: D3D70044 1D122190
	v_mfma_i32_16x16x32_i8 v[68:71], a[146:147], a[18:19], v[68:71]// 0000000039C8: D3D70044 1D122592
	buffer_load_dwordx4 a[88:91], v44, s[24:27], 0 offen       // 0000000039D0: E05C1000 8086582C
	v_mfma_i32_16x16x32_i8 v[68:71], a[148:149], a[20:21], v[68:71]// 0000000039D8: D3D70044 1D122994
	v_mfma_i32_16x16x32_i8 v[68:71], a[150:151], a[22:23], v[68:71]// 0000000039E0: D3D70044 1D122D96
	v_mfma_i32_16x16x32_i8 v[76:79], a[152:153], a[16:17], v[76:79]// 0000000039E8: D3D7004C 1D322198
	v_mfma_i32_16x16x32_i8 v[76:79], a[154:155], a[18:19], v[76:79]// 0000000039F0: D3D7004C 1D32259A
	buffer_load_dwordx4 a[92:95], v44, s[24:27], 0 offen offset:1024// 0000000039F8: E05C1400 80865C2C
	v_mfma_i32_16x16x32_i8 v[76:79], a[156:157], a[20:21], v[76:79]// 000000003A00: D3D7004C 1D32299C
	v_mfma_i32_16x16x32_i8 v[76:79], a[158:159], a[22:23], v[76:79]// 000000003A08: D3D7004C 1D322D9E
	v_mfma_i32_16x16x32_i8 v[84:87], a[160:161], a[16:17], v[84:87]// 000000003A10: D3D70054 1D5221A0
	v_mfma_i32_16x16x32_i8 v[84:87], a[162:163], a[18:19], v[84:87]// 000000003A18: D3D70054 1D5225A2
	buffer_load_dwordx4 a[96:99], v45, s[24:27], 0 offen       // 000000003A20: E05C1000 8086602D
	v_mfma_i32_16x16x32_i8 v[84:87], a[164:165], a[20:21], v[84:87]// 000000003A28: D3D70054 1D5229A4
	v_mfma_i32_16x16x32_i8 v[84:87], a[166:167], a[22:23], v[84:87]// 000000003A30: D3D70054 1D522DA6
	v_mfma_i32_16x16x32_i8 v[92:95], a[168:169], a[16:17], v[92:95]// 000000003A38: D3D7005C 1D7221A8
	v_mfma_i32_16x16x32_i8 v[92:95], a[170:171], a[18:19], v[92:95]// 000000003A40: D3D7005C 1D7225AA
	buffer_load_dwordx4 a[100:103], v45, s[24:27], 0 offen offset:1024// 000000003A48: E05C1400 8086642D
	v_mfma_i32_16x16x32_i8 v[92:95], a[172:173], a[20:21], v[92:95]// 000000003A50: D3D7005C 1D7229AC
	v_mfma_i32_16x16x32_i8 v[92:95], a[174:175], a[22:23], v[92:95]// 000000003A58: D3D7005C 1D722DAE
	v_mfma_i32_16x16x32_i8 v[56:59], a[128:129], a[24:25], v[56:59]// 000000003A60: D3D70038 1CE23180
	v_mfma_i32_16x16x32_i8 v[56:59], a[130:131], a[26:27], v[56:59]// 000000003A68: D3D70038 1CE23582
	buffer_load_dwordx4 a[104:107], v46, s[24:27], 0 offen     // 000000003A70: E05C1000 8086682E
	v_mfma_i32_16x16x32_i8 v[56:59], a[132:133], a[28:29], v[56:59]// 000000003A78: D3D70038 1CE23984
	v_mfma_i32_16x16x32_i8 v[56:59], a[134:135], a[30:31], v[56:59]// 000000003A80: D3D70038 1CE23D86
	v_mfma_i32_16x16x32_i8 v[64:67], a[136:137], a[24:25], v[64:67]// 000000003A88: D3D70040 1D023188
	v_mfma_i32_16x16x32_i8 v[64:67], a[138:139], a[26:27], v[64:67]// 000000003A90: D3D70040 1D02358A
	buffer_load_dwordx4 a[108:111], v46, s[24:27], 0 offen offset:1024// 000000003A98: E05C1400 80866C2E
	v_mfma_i32_16x16x32_i8 v[64:67], a[140:141], a[28:29], v[64:67]// 000000003AA0: D3D70040 1D02398C
	v_mfma_i32_16x16x32_i8 v[64:67], a[142:143], a[30:31], v[64:67]// 000000003AA8: D3D70040 1D023D8E
	v_mfma_i32_16x16x32_i8 v[72:75], a[144:145], a[24:25], v[72:75]// 000000003AB0: D3D70048 1D223190
	v_mfma_i32_16x16x32_i8 v[72:75], a[146:147], a[26:27], v[72:75]// 000000003AB8: D3D70048 1D223592
	buffer_load_dwordx4 a[112:115], v47, s[24:27], 0 offen     // 000000003AC0: E05C1000 8086702F
	v_mfma_i32_16x16x32_i8 v[72:75], a[148:149], a[28:29], v[72:75]// 000000003AC8: D3D70048 1D223994
	v_mfma_i32_16x16x32_i8 v[72:75], a[150:151], a[30:31], v[72:75]// 000000003AD0: D3D70048 1D223D96
	v_mfma_i32_16x16x32_i8 v[80:83], a[152:153], a[24:25], v[80:83]// 000000003AD8: D3D70050 1D423198
	v_mfma_i32_16x16x32_i8 v[80:83], a[154:155], a[26:27], v[80:83]// 000000003AE0: D3D70050 1D42359A
	buffer_load_dwordx4 a[116:119], v47, s[24:27], 0 offen offset:1024// 000000003AE8: E05C1400 8086742F
	v_mfma_i32_16x16x32_i8 v[80:83], a[156:157], a[28:29], v[80:83]// 000000003AF0: D3D70050 1D42399C
	v_mfma_i32_16x16x32_i8 v[80:83], a[158:159], a[30:31], v[80:83]// 000000003AF8: D3D70050 1D423D9E
	v_mfma_i32_16x16x32_i8 v[88:91], a[160:161], a[24:25], v[88:91]// 000000003B00: D3D70058 1D6231A0
	v_mfma_i32_16x16x32_i8 v[88:91], a[162:163], a[26:27], v[88:91]// 000000003B08: D3D70058 1D6235A2
	buffer_load_dwordx4 a[120:123], v48, s[24:27], 0 offen     // 000000003B10: E05C1000 80867830
	v_mfma_i32_16x16x32_i8 v[88:91], a[164:165], a[28:29], v[88:91]// 000000003B18: D3D70058 1D6239A4
	v_mfma_i32_16x16x32_i8 v[88:91], a[166:167], a[30:31], v[88:91]// 000000003B20: D3D70058 1D623DA6
	v_mfma_i32_16x16x32_i8 v[96:99], a[168:169], a[24:25], v[96:99]// 000000003B28: D3D70060 1D8231A8
	v_mfma_i32_16x16x32_i8 v[96:99], a[170:171], a[26:27], v[96:99]// 000000003B30: D3D70060 1D8235AA
	buffer_load_dwordx4 a[124:127], v48, s[24:27], 0 offen offset:1024// 000000003B38: E05C1400 80867C30
	buffer_load_dword v39, s[20:23], 0 offen lds               // 000000003B40: E0511000 80050027
	s_add_u32 m0, 0x100, s48                                   // 000000003B48: 807C30FF 00000100
	v_mfma_i32_16x16x32_i8 v[96:99], a[172:173], a[28:29], v[96:99]// 000000003B50: D3D70060 1D8239AC
	v_mfma_i32_16x16x32_i8 v[96:99], a[174:175], a[30:31], v[96:99]// 000000003B58: D3D70060 1D823DAE
	buffer_load_dword v40, s[20:23], 0 offen lds               // 000000003B60: E0511000 80050028
	s_add_u32 m0, 0x200, s48                                   // 000000003B68: 807C30FF 00000200
	buffer_load_dword v41, s[20:23], 0 offen lds               // 000000003B70: E0511000 80050029
	s_add_u32 m0, 0x300, s48                                   // 000000003B78: 807C30FF 00000300
	buffer_load_dword v42, s[20:23], 0 offen lds               // 000000003B80: E0511000 8005002A
	s_add_u32 m0, 0, s49                                       // 000000003B88: 807C3180
	s_waitcnt vmcnt(16)                                        // 000000003B8C: BF8C4F70
	s_barrier                                                  // 000000003B90: BF8A0000
	v_mfma_i32_16x16x32_i8 v[100:103], a[32:33], a[16:17], v[100:103]// 000000003B94: D3D70064 1D922120
	v_mfma_i32_16x16x32_i8 v[100:103], a[34:35], a[18:19], v[100:103]// 000000003B9C: D3D70064 1D922522
	buffer_load_dwordx4 a[128:131], v43, s[84:87], 0 offen     // 000000003BA4: E05C1000 8095802B
	v_mfma_i32_16x16x32_i8 v[100:103], a[36:37], a[20:21], v[100:103]// 000000003BAC: D3D70064 1D922924
	v_mfma_i32_16x16x32_i8 v[100:103], a[38:39], a[22:23], v[100:103]// 000000003BB4: D3D70064 1D922D26
	ds_read_b128 a[0:3], v2 offset:8448                        // 000000003BBC: DBFE2100 00000002
	ds_read_b128 a[4:7], v2 offset:8512                        // 000000003BC4: DBFE2140 04000002
	v_mfma_i32_16x16x32_i8 v[108:111], a[40:41], a[16:17], v[108:111]// 000000003BCC: D3D7006C 1DB22128
	v_mfma_i32_16x16x32_i8 v[108:111], a[42:43], a[18:19], v[108:111]// 000000003BD4: D3D7006C 1DB2252A
	buffer_load_dwordx4 a[132:135], v43, s[84:87], 0 offen offset:1024// 000000003BDC: E05C1400 8095842B
	v_mfma_i32_16x16x32_i8 v[108:111], a[44:45], a[20:21], v[108:111]// 000000003BE4: D3D7006C 1DB2292C
	v_mfma_i32_16x16x32_i8 v[108:111], a[46:47], a[22:23], v[108:111]// 000000003BEC: D3D7006C 1DB22D2E
	ds_read_b128 a[8:11], v2 offset:8960                       // 000000003BF4: DBFE2300 08000002
	ds_read_b128 a[12:15], v2 offset:9024                      // 000000003BFC: DBFE2340 0C000002
	v_mfma_i32_16x16x32_i8 v[116:119], a[48:49], a[16:17], v[116:119]// 000000003C04: D3D70074 1DD22130
	v_mfma_i32_16x16x32_i8 v[116:119], a[50:51], a[18:19], v[116:119]// 000000003C0C: D3D70074 1DD22532
	buffer_load_dwordx4 a[136:139], v44, s[84:87], 0 offen     // 000000003C14: E05C1000 8095882C
	v_mfma_i32_16x16x32_i8 v[116:119], a[52:53], a[20:21], v[116:119]// 000000003C1C: D3D70074 1DD22934
	v_mfma_i32_16x16x32_i8 v[116:119], a[54:55], a[22:23], v[116:119]// 000000003C24: D3D70074 1DD22D36
	v_mfma_i32_16x16x32_i8 v[124:127], a[56:57], a[16:17], v[124:127]// 000000003C2C: D3D7007C 1DF22138
	v_mfma_i32_16x16x32_i8 v[124:127], a[58:59], a[18:19], v[124:127]// 000000003C34: D3D7007C 1DF2253A
	buffer_load_dwordx4 a[140:143], v44, s[84:87], 0 offen offset:1024// 000000003C3C: E05C1400 80958C2C
	v_mfma_i32_16x16x32_i8 v[124:127], a[60:61], a[20:21], v[124:127]// 000000003C44: D3D7007C 1DF2293C
	v_mfma_i32_16x16x32_i8 v[124:127], a[62:63], a[22:23], v[124:127]// 000000003C4C: D3D7007C 1DF22D3E
	v_mfma_i32_16x16x32_i8 v[132:135], a[64:65], a[16:17], v[132:135]// 000000003C54: D3D70084 1E122140
	v_mfma_i32_16x16x32_i8 v[132:135], a[66:67], a[18:19], v[132:135]// 000000003C5C: D3D70084 1E122542
	buffer_load_dwordx4 a[144:147], v45, s[84:87], 0 offen     // 000000003C64: E05C1000 8095902D
	v_mfma_i32_16x16x32_i8 v[132:135], a[68:69], a[20:21], v[132:135]// 000000003C6C: D3D70084 1E122944
	v_mfma_i32_16x16x32_i8 v[132:135], a[70:71], a[22:23], v[132:135]// 000000003C74: D3D70084 1E122D46
	v_mfma_i32_16x16x32_i8 v[140:143], a[72:73], a[16:17], v[140:143]// 000000003C7C: D3D7008C 1E322148
	v_mfma_i32_16x16x32_i8 v[140:143], a[74:75], a[18:19], v[140:143]// 000000003C84: D3D7008C 1E32254A
	buffer_load_dwordx4 a[148:151], v45, s[84:87], 0 offen offset:1024// 000000003C8C: E05C1400 8095942D
	v_mfma_i32_16x16x32_i8 v[140:143], a[76:77], a[20:21], v[140:143]// 000000003C94: D3D7008C 1E32294C
	v_mfma_i32_16x16x32_i8 v[140:143], a[78:79], a[22:23], v[140:143]// 000000003C9C: D3D7008C 1E322D4E
	v_mfma_i32_16x16x32_i8 v[104:107], a[32:33], a[24:25], v[104:107]// 000000003CA4: D3D70068 1DA23120
	v_mfma_i32_16x16x32_i8 v[104:107], a[34:35], a[26:27], v[104:107]// 000000003CAC: D3D70068 1DA23522
	buffer_load_dwordx4 a[152:155], v46, s[84:87], 0 offen     // 000000003CB4: E05C1000 8095982E
	v_mfma_i32_16x16x32_i8 v[104:107], a[36:37], a[28:29], v[104:107]// 000000003CBC: D3D70068 1DA23924
	v_mfma_i32_16x16x32_i8 v[104:107], a[38:39], a[30:31], v[104:107]// 000000003CC4: D3D70068 1DA23D26
	v_mfma_i32_16x16x32_i8 v[112:115], a[40:41], a[24:25], v[112:115]// 000000003CCC: D3D70070 1DC23128
	v_mfma_i32_16x16x32_i8 v[112:115], a[42:43], a[26:27], v[112:115]// 000000003CD4: D3D70070 1DC2352A
	buffer_load_dwordx4 a[156:159], v46, s[84:87], 0 offen offset:1024// 000000003CDC: E05C1400 80959C2E
	v_mfma_i32_16x16x32_i8 v[112:115], a[44:45], a[28:29], v[112:115]// 000000003CE4: D3D70070 1DC2392C
	v_mfma_i32_16x16x32_i8 v[112:115], a[46:47], a[30:31], v[112:115]// 000000003CEC: D3D70070 1DC23D2E
	v_mfma_i32_16x16x32_i8 v[120:123], a[48:49], a[24:25], v[120:123]// 000000003CF4: D3D70078 1DE23130
	v_mfma_i32_16x16x32_i8 v[120:123], a[50:51], a[26:27], v[120:123]// 000000003CFC: D3D70078 1DE23532
	buffer_load_dwordx4 a[160:163], v47, s[84:87], 0 offen     // 000000003D04: E05C1000 8095A02F
	v_mfma_i32_16x16x32_i8 v[120:123], a[52:53], a[28:29], v[120:123]// 000000003D0C: D3D70078 1DE23934
	v_mfma_i32_16x16x32_i8 v[120:123], a[54:55], a[30:31], v[120:123]// 000000003D14: D3D70078 1DE23D36
	v_mfma_i32_16x16x32_i8 v[128:131], a[56:57], a[24:25], v[128:131]// 000000003D1C: D3D70080 1E023138
	v_mfma_i32_16x16x32_i8 v[128:131], a[58:59], a[26:27], v[128:131]// 000000003D24: D3D70080 1E02353A
	buffer_load_dwordx4 a[164:167], v47, s[84:87], 0 offen offset:1024// 000000003D2C: E05C1400 8095A42F
	v_mfma_i32_16x16x32_i8 v[128:131], a[60:61], a[28:29], v[128:131]// 000000003D34: D3D70080 1E02393C
	v_mfma_i32_16x16x32_i8 v[128:131], a[62:63], a[30:31], v[128:131]// 000000003D3C: D3D70080 1E023D3E
	v_mfma_i32_16x16x32_i8 v[136:139], a[64:65], a[24:25], v[136:139]// 000000003D44: D3D70088 1E223140
	s_add_u32 s60, 0x180, s80                                  // 000000003D4C: 803C50FF 00000180
	s_cmp_lt_u32 s60, s81                                      // 000000003D54: BF0A513C
	s_cselect_b32 s57, s57, 0                                  // 000000003D58: 85398039
	v_mfma_i32_16x16x32_i8 v[136:139], a[66:67], a[26:27], v[136:139]// 000000003D5C: D3D70088 1E223542
	buffer_load_dwordx4 a[168:171], v48, s[84:87], 0 offen     // 000000003D64: E05C1000 8095A830
	s_add_u32 s60, 0x100, s80                                  // 000000003D6C: 803C50FF 00000100
	s_cmp_lt_u32 s60, s81                                      // 000000003D74: BF0A513C
	s_cselect_b32 s58, s58, 0                                  // 000000003D78: 853A803A
	v_mfma_i32_16x16x32_i8 v[136:139], a[68:69], a[28:29], v[136:139]// 000000003D7C: D3D70088 1E223944
	s_add_u32 s60, 0x100, s80                                  // 000000003D84: 803C50FF 00000100
	s_cmp_lt_u32 s60, s81                                      // 000000003D8C: BF0A513C
	s_cselect_b32 s83, s83, 0                                  // 000000003D90: 85538053
	v_mfma_i32_16x16x32_i8 v[136:139], a[70:71], a[30:31], v[136:139]// 000000003D94: D3D70088 1E223D46
	s_add_u32 s24, s58, s24                                    // 000000003D9C: 8018183A
	s_addc_u32 s25, 0, s25                                     // 000000003DA0: 82191980
	v_mfma_i32_16x16x32_i8 v[144:147], a[72:73], a[24:25], v[144:147]// 000000003DA4: D3D70090 1E423148
	s_add_u32 s20, s57, s20                                    // 000000003DAC: 80141439
	s_addc_u32 s21, 0, s21                                     // 000000003DB0: 82151580
	v_mfma_i32_16x16x32_i8 v[144:147], a[74:75], a[26:27], v[144:147]// 000000003DB4: D3D70090 1E42354A
	buffer_load_dwordx4 a[172:175], v48, s[84:87], 0 offen offset:1024// 000000003DBC: E05C1400 8095AC30
	s_add_u32 s84, s83, s84                                    // 000000003DC4: 80545453
	s_addc_u32 s85, 0, s85                                     // 000000003DC8: 82555580
	v_mfma_i32_16x16x32_i8 v[144:147], a[76:77], a[28:29], v[144:147]// 000000003DCC: D3D70090 1E42394C
	v_mfma_i32_16x16x32_i8 v[144:147], a[78:79], a[30:31], v[144:147]// 000000003DD4: D3D70090 1E423D4E
	s_addk_i32 s80, 0x80                                       // 000000003DDC: B7500080
	s_cmp_lt_i32 s80, s81                                      // 000000003DE0: BF045150
	s_cbranch_scc0 label_08F7                                  // 000000003DE4: BF84047D
	s_waitcnt vmcnt(16) lgkmcnt(0)                             // 000000003DE8: BF8C4070
	v_mfma_i32_16x16x32_i8 v[52:55], a[80:81], a[0:1], v[52:55]// 000000003DEC: D3D70034 1CD20150
	v_mfma_i32_16x16x32_i8 v[52:55], a[82:83], a[2:3], v[52:55]// 000000003DF4: D3D70034 1CD20552
	buffer_load_dwordx4 a[32:35], v43, s[24:27], 0 offen       // 000000003DFC: E05C1000 8086202B
	v_mfma_i32_16x16x32_i8 v[52:55], a[84:85], a[4:5], v[52:55]// 000000003E04: D3D70034 1CD20954
	v_mfma_i32_16x16x32_i8 v[52:55], a[86:87], a[6:7], v[52:55]// 000000003E0C: D3D70034 1CD20D56
	v_mfma_i32_16x16x32_i8 v[60:63], a[88:89], a[0:1], v[60:63]// 000000003E14: D3D7003C 1CF20158
	v_mfma_i32_16x16x32_i8 v[60:63], a[90:91], a[2:3], v[60:63]// 000000003E1C: D3D7003C 1CF2055A
	buffer_load_dwordx4 a[36:39], v43, s[24:27], 0 offen offset:1024// 000000003E24: E05C1400 8086242B
	v_mfma_i32_16x16x32_i8 v[60:63], a[92:93], a[4:5], v[60:63]// 000000003E2C: D3D7003C 1CF2095C
	v_mfma_i32_16x16x32_i8 v[60:63], a[94:95], a[6:7], v[60:63]// 000000003E34: D3D7003C 1CF20D5E
	v_mfma_i32_16x16x32_i8 v[68:71], a[96:97], a[0:1], v[68:71]// 000000003E3C: D3D70044 1D120160
	v_mfma_i32_16x16x32_i8 v[68:71], a[98:99], a[2:3], v[68:71]// 000000003E44: D3D70044 1D120562
	buffer_load_dwordx4 a[40:43], v44, s[24:27], 0 offen       // 000000003E4C: E05C1000 8086282C
	v_mfma_i32_16x16x32_i8 v[68:71], a[100:101], a[4:5], v[68:71]// 000000003E54: D3D70044 1D120964
	v_mfma_i32_16x16x32_i8 v[68:71], a[102:103], a[6:7], v[68:71]// 000000003E5C: D3D70044 1D120D66
	v_mfma_i32_16x16x32_i8 v[76:79], a[104:105], a[0:1], v[76:79]// 000000003E64: D3D7004C 1D320168
	v_mfma_i32_16x16x32_i8 v[76:79], a[106:107], a[2:3], v[76:79]// 000000003E6C: D3D7004C 1D32056A
	buffer_load_dwordx4 a[44:47], v44, s[24:27], 0 offen offset:1024// 000000003E74: E05C1400 80862C2C
	v_mfma_i32_16x16x32_i8 v[76:79], a[108:109], a[4:5], v[76:79]// 000000003E7C: D3D7004C 1D32096C
	v_mfma_i32_16x16x32_i8 v[76:79], a[110:111], a[6:7], v[76:79]// 000000003E84: D3D7004C 1D320D6E
	v_mfma_i32_16x16x32_i8 v[84:87], a[112:113], a[0:1], v[84:87]// 000000003E8C: D3D70054 1D520170
	v_mfma_i32_16x16x32_i8 v[84:87], a[114:115], a[2:3], v[84:87]// 000000003E94: D3D70054 1D520572
	buffer_load_dwordx4 a[48:51], v45, s[24:27], 0 offen       // 000000003E9C: E05C1000 8086302D
	v_mfma_i32_16x16x32_i8 v[84:87], a[116:117], a[4:5], v[84:87]// 000000003EA4: D3D70054 1D520974
	v_mfma_i32_16x16x32_i8 v[84:87], a[118:119], a[6:7], v[84:87]// 000000003EAC: D3D70054 1D520D76
	v_mfma_i32_16x16x32_i8 v[92:95], a[120:121], a[0:1], v[92:95]// 000000003EB4: D3D7005C 1D720178
	v_mfma_i32_16x16x32_i8 v[92:95], a[122:123], a[2:3], v[92:95]// 000000003EBC: D3D7005C 1D72057A
	buffer_load_dwordx4 a[52:55], v45, s[24:27], 0 offen offset:1024// 000000003EC4: E05C1400 8086342D
	v_mfma_i32_16x16x32_i8 v[92:95], a[124:125], a[4:5], v[92:95]// 000000003ECC: D3D7005C 1D72097C
	v_mfma_i32_16x16x32_i8 v[92:95], a[126:127], a[6:7], v[92:95]// 000000003ED4: D3D7005C 1D720D7E
	v_mfma_i32_16x16x32_i8 v[56:59], a[80:81], a[8:9], v[56:59]// 000000003EDC: D3D70038 1CE21150
	v_mfma_i32_16x16x32_i8 v[56:59], a[82:83], a[10:11], v[56:59]// 000000003EE4: D3D70038 1CE21552
	buffer_load_dwordx4 a[56:59], v46, s[24:27], 0 offen       // 000000003EEC: E05C1000 8086382E
	v_mfma_i32_16x16x32_i8 v[56:59], a[84:85], a[12:13], v[56:59]// 000000003EF4: D3D70038 1CE21954
	v_mfma_i32_16x16x32_i8 v[56:59], a[86:87], a[14:15], v[56:59]// 000000003EFC: D3D70038 1CE21D56
	v_mfma_i32_16x16x32_i8 v[64:67], a[88:89], a[8:9], v[64:67]// 000000003F04: D3D70040 1D021158
	v_mfma_i32_16x16x32_i8 v[64:67], a[90:91], a[10:11], v[64:67]// 000000003F0C: D3D70040 1D02155A
	buffer_load_dwordx4 a[60:63], v46, s[24:27], 0 offen offset:1024// 000000003F14: E05C1400 80863C2E
	v_mfma_i32_16x16x32_i8 v[64:67], a[92:93], a[12:13], v[64:67]// 000000003F1C: D3D70040 1D02195C
	v_mfma_i32_16x16x32_i8 v[64:67], a[94:95], a[14:15], v[64:67]// 000000003F24: D3D70040 1D021D5E
	v_mfma_i32_16x16x32_i8 v[72:75], a[96:97], a[8:9], v[72:75]// 000000003F2C: D3D70048 1D221160
	v_mfma_i32_16x16x32_i8 v[72:75], a[98:99], a[10:11], v[72:75]// 000000003F34: D3D70048 1D221562
	buffer_load_dwordx4 a[64:67], v47, s[24:27], 0 offen       // 000000003F3C: E05C1000 8086402F
	v_mfma_i32_16x16x32_i8 v[72:75], a[100:101], a[12:13], v[72:75]// 000000003F44: D3D70048 1D221964
	v_mfma_i32_16x16x32_i8 v[72:75], a[102:103], a[14:15], v[72:75]// 000000003F4C: D3D70048 1D221D66
	v_mfma_i32_16x16x32_i8 v[80:83], a[104:105], a[8:9], v[80:83]// 000000003F54: D3D70050 1D421168
	v_mfma_i32_16x16x32_i8 v[80:83], a[106:107], a[10:11], v[80:83]// 000000003F5C: D3D70050 1D42156A
	buffer_load_dwordx4 a[68:71], v47, s[24:27], 0 offen offset:1024// 000000003F64: E05C1400 8086442F
	v_mfma_i32_16x16x32_i8 v[80:83], a[108:109], a[12:13], v[80:83]// 000000003F6C: D3D70050 1D42196C
	v_mfma_i32_16x16x32_i8 v[80:83], a[110:111], a[14:15], v[80:83]// 000000003F74: D3D70050 1D421D6E
	v_mfma_i32_16x16x32_i8 v[88:91], a[112:113], a[8:9], v[88:91]// 000000003F7C: D3D70058 1D621170
	v_mfma_i32_16x16x32_i8 v[88:91], a[114:115], a[10:11], v[88:91]// 000000003F84: D3D70058 1D621572
	buffer_load_dwordx4 a[72:75], v48, s[24:27], 0 offen       // 000000003F8C: E05C1000 80864830
	v_mfma_i32_16x16x32_i8 v[88:91], a[116:117], a[12:13], v[88:91]// 000000003F94: D3D70058 1D621974
	v_mfma_i32_16x16x32_i8 v[88:91], a[118:119], a[14:15], v[88:91]// 000000003F9C: D3D70058 1D621D76
	v_mfma_i32_16x16x32_i8 v[96:99], a[120:121], a[8:9], v[96:99]// 000000003FA4: D3D70060 1D821178
	v_mfma_i32_16x16x32_i8 v[96:99], a[122:123], a[10:11], v[96:99]// 000000003FAC: D3D70060 1D82157A
	buffer_load_dwordx4 a[76:79], v48, s[24:27], 0 offen offset:1024// 000000003FB4: E05C1400 80864C30
	buffer_load_dword v39, s[20:23], 0 offen lds               // 000000003FBC: E0511000 80050027
	s_add_u32 m0, 0x100, s49                                   // 000000003FC4: 807C31FF 00000100
	v_mfma_i32_16x16x32_i8 v[96:99], a[124:125], a[12:13], v[96:99]// 000000003FCC: D3D70060 1D82197C
	v_mfma_i32_16x16x32_i8 v[96:99], a[126:127], a[14:15], v[96:99]// 000000003FD4: D3D70060 1D821D7E
	buffer_load_dword v40, s[20:23], 0 offen lds               // 000000003FDC: E0511000 80050028
	s_add_u32 m0, 0x200, s49                                   // 000000003FE4: 807C31FF 00000200
	buffer_load_dword v41, s[20:23], 0 offen lds               // 000000003FEC: E0511000 80050029
	s_add_u32 m0, 0x300, s49                                   // 000000003FF4: 807C31FF 00000300
	buffer_load_dword v42, s[20:23], 0 offen lds               // 000000003FFC: E0511000 8005002A
	s_add_u32 m0, 0, s50                                       // 000000004004: 807C3280
	s_waitcnt vmcnt(16)                                        // 000000004008: BF8C4F70
	s_barrier                                                  // 00000000400C: BF8A0000
	v_mfma_i32_16x16x32_i8 v[100:103], a[128:129], a[0:1], v[100:103]// 000000004010: D3D70064 1D920180
	v_mfma_i32_16x16x32_i8 v[100:103], a[130:131], a[2:3], v[100:103]// 000000004018: D3D70064 1D920582
	buffer_load_dwordx4 a[80:83], v43, s[84:87], 0 offen       // 000000004020: E05C1000 8095502B
	v_mfma_i32_16x16x32_i8 v[100:103], a[132:133], a[4:5], v[100:103]// 000000004028: D3D70064 1D920984
	v_mfma_i32_16x16x32_i8 v[100:103], a[134:135], a[6:7], v[100:103]// 000000004030: D3D70064 1D920D86
	ds_read_b128 a[16:19], v2                                  // 000000004038: DBFE0000 10000002
	ds_read_b128 a[20:23], v2 offset:64                        // 000000004040: DBFE0040 14000002
	v_mfma_i32_16x16x32_i8 v[108:111], a[136:137], a[0:1], v[108:111]// 000000004048: D3D7006C 1DB20188
	v_mfma_i32_16x16x32_i8 v[108:111], a[138:139], a[2:3], v[108:111]// 000000004050: D3D7006C 1DB2058A
	buffer_load_dwordx4 a[84:87], v43, s[84:87], 0 offen offset:1024// 000000004058: E05C1400 8095542B
	v_mfma_i32_16x16x32_i8 v[108:111], a[140:141], a[4:5], v[108:111]// 000000004060: D3D7006C 1DB2098C
	v_mfma_i32_16x16x32_i8 v[108:111], a[142:143], a[6:7], v[108:111]// 000000004068: D3D7006C 1DB20D8E
	ds_read_b128 a[24:27], v2 offset:512                       // 000000004070: DBFE0200 18000002
	ds_read_b128 a[28:31], v2 offset:576                       // 000000004078: DBFE0240 1C000002
	v_mfma_i32_16x16x32_i8 v[116:119], a[144:145], a[0:1], v[116:119]// 000000004080: D3D70074 1DD20190
	v_mfma_i32_16x16x32_i8 v[116:119], a[146:147], a[2:3], v[116:119]// 000000004088: D3D70074 1DD20592
	buffer_load_dwordx4 a[88:91], v44, s[84:87], 0 offen       // 000000004090: E05C1000 8095582C
	v_mfma_i32_16x16x32_i8 v[116:119], a[148:149], a[4:5], v[116:119]// 000000004098: D3D70074 1DD20994
	v_mfma_i32_16x16x32_i8 v[116:119], a[150:151], a[6:7], v[116:119]// 0000000040A0: D3D70074 1DD20D96
	v_mfma_i32_16x16x32_i8 v[124:127], a[152:153], a[0:1], v[124:127]// 0000000040A8: D3D7007C 1DF20198
	v_mfma_i32_16x16x32_i8 v[124:127], a[154:155], a[2:3], v[124:127]// 0000000040B0: D3D7007C 1DF2059A
	buffer_load_dwordx4 a[92:95], v44, s[84:87], 0 offen offset:1024// 0000000040B8: E05C1400 80955C2C
	v_mfma_i32_16x16x32_i8 v[124:127], a[156:157], a[4:5], v[124:127]// 0000000040C0: D3D7007C 1DF2099C
	v_mfma_i32_16x16x32_i8 v[124:127], a[158:159], a[6:7], v[124:127]// 0000000040C8: D3D7007C 1DF20D9E
	v_mfma_i32_16x16x32_i8 v[132:135], a[160:161], a[0:1], v[132:135]// 0000000040D0: D3D70084 1E1201A0
	v_mfma_i32_16x16x32_i8 v[132:135], a[162:163], a[2:3], v[132:135]// 0000000040D8: D3D70084 1E1205A2
	buffer_load_dwordx4 a[96:99], v45, s[84:87], 0 offen       // 0000000040E0: E05C1000 8095602D
	v_mfma_i32_16x16x32_i8 v[132:135], a[164:165], a[4:5], v[132:135]// 0000000040E8: D3D70084 1E1209A4
	v_mfma_i32_16x16x32_i8 v[132:135], a[166:167], a[6:7], v[132:135]// 0000000040F0: D3D70084 1E120DA6
	v_mfma_i32_16x16x32_i8 v[140:143], a[168:169], a[0:1], v[140:143]// 0000000040F8: D3D7008C 1E3201A8
	v_mfma_i32_16x16x32_i8 v[140:143], a[170:171], a[2:3], v[140:143]// 000000004100: D3D7008C 1E3205AA
	buffer_load_dwordx4 a[100:103], v45, s[84:87], 0 offen offset:1024// 000000004108: E05C1400 8095642D
	v_mfma_i32_16x16x32_i8 v[140:143], a[172:173], a[4:5], v[140:143]// 000000004110: D3D7008C 1E3209AC
	v_mfma_i32_16x16x32_i8 v[140:143], a[174:175], a[6:7], v[140:143]// 000000004118: D3D7008C 1E320DAE
	v_mfma_i32_16x16x32_i8 v[104:107], a[128:129], a[8:9], v[104:107]// 000000004120: D3D70068 1DA21180
	v_mfma_i32_16x16x32_i8 v[104:107], a[130:131], a[10:11], v[104:107]// 000000004128: D3D70068 1DA21582
	buffer_load_dwordx4 a[104:107], v46, s[84:87], 0 offen     // 000000004130: E05C1000 8095682E
	v_mfma_i32_16x16x32_i8 v[104:107], a[132:133], a[12:13], v[104:107]// 000000004138: D3D70068 1DA21984
	v_mfma_i32_16x16x32_i8 v[104:107], a[134:135], a[14:15], v[104:107]// 000000004140: D3D70068 1DA21D86
	v_mfma_i32_16x16x32_i8 v[112:115], a[136:137], a[8:9], v[112:115]// 000000004148: D3D70070 1DC21188
	v_mfma_i32_16x16x32_i8 v[112:115], a[138:139], a[10:11], v[112:115]// 000000004150: D3D70070 1DC2158A
	buffer_load_dwordx4 a[108:111], v46, s[84:87], 0 offen offset:1024// 000000004158: E05C1400 80956C2E
	v_mfma_i32_16x16x32_i8 v[112:115], a[140:141], a[12:13], v[112:115]// 000000004160: D3D70070 1DC2198C
	v_mfma_i32_16x16x32_i8 v[112:115], a[142:143], a[14:15], v[112:115]// 000000004168: D3D70070 1DC21D8E
	v_mfma_i32_16x16x32_i8 v[120:123], a[144:145], a[8:9], v[120:123]// 000000004170: D3D70078 1DE21190
	v_mfma_i32_16x16x32_i8 v[120:123], a[146:147], a[10:11], v[120:123]// 000000004178: D3D70078 1DE21592
	buffer_load_dwordx4 a[112:115], v47, s[84:87], 0 offen     // 000000004180: E05C1000 8095702F
	v_mfma_i32_16x16x32_i8 v[120:123], a[148:149], a[12:13], v[120:123]// 000000004188: D3D70078 1DE21994
	v_mfma_i32_16x16x32_i8 v[120:123], a[150:151], a[14:15], v[120:123]// 000000004190: D3D70078 1DE21D96
	v_mfma_i32_16x16x32_i8 v[128:131], a[152:153], a[8:9], v[128:131]// 000000004198: D3D70080 1E021198
	v_mfma_i32_16x16x32_i8 v[128:131], a[154:155], a[10:11], v[128:131]// 0000000041A0: D3D70080 1E02159A
	buffer_load_dwordx4 a[116:119], v47, s[84:87], 0 offen offset:1024// 0000000041A8: E05C1400 8095742F
	v_mfma_i32_16x16x32_i8 v[128:131], a[156:157], a[12:13], v[128:131]// 0000000041B0: D3D70080 1E02199C
	v_mfma_i32_16x16x32_i8 v[128:131], a[158:159], a[14:15], v[128:131]// 0000000041B8: D3D70080 1E021D9E
	v_mfma_i32_16x16x32_i8 v[136:139], a[160:161], a[8:9], v[136:139]// 0000000041C0: D3D70088 1E2211A0
	s_add_u32 s60, 0x180, s80                                  // 0000000041C8: 803C50FF 00000180
	s_cmp_lt_u32 s60, s81                                      // 0000000041D0: BF0A513C
	s_cselect_b32 s57, s57, 0                                  // 0000000041D4: 85398039
	v_mfma_i32_16x16x32_i8 v[136:139], a[162:163], a[10:11], v[136:139]// 0000000041D8: D3D70088 1E2215A2
	buffer_load_dwordx4 a[120:123], v48, s[84:87], 0 offen     // 0000000041E0: E05C1000 80957830
	s_add_u32 s60, 0x100, s80                                  // 0000000041E8: 803C50FF 00000100
	s_cmp_lt_u32 s60, s81                                      // 0000000041F0: BF0A513C
	s_cselect_b32 s58, s58, 0                                  // 0000000041F4: 853A803A
	v_mfma_i32_16x16x32_i8 v[136:139], a[164:165], a[12:13], v[136:139]// 0000000041F8: D3D70088 1E2219A4
	s_add_u32 s60, 0x100, s80                                  // 000000004200: 803C50FF 00000100
	s_cmp_lt_u32 s60, s81                                      // 000000004208: BF0A513C
	s_cselect_b32 s83, s83, 0                                  // 00000000420C: 85538053
	v_mfma_i32_16x16x32_i8 v[136:139], a[166:167], a[14:15], v[136:139]// 000000004210: D3D70088 1E221DA6
	s_add_u32 s24, s58, s24                                    // 000000004218: 8018183A
	s_addc_u32 s25, 0, s25                                     // 00000000421C: 82191980
	v_mfma_i32_16x16x32_i8 v[144:147], a[168:169], a[8:9], v[144:147]// 000000004220: D3D70090 1E4211A8
	s_add_u32 s20, s57, s20                                    // 000000004228: 80141439
	s_addc_u32 s21, 0, s21                                     // 00000000422C: 82151580
	v_mfma_i32_16x16x32_i8 v[144:147], a[170:171], a[10:11], v[144:147]// 000000004230: D3D70090 1E4215AA
	buffer_load_dwordx4 a[124:127], v48, s[84:87], 0 offen offset:1024// 000000004238: E05C1400 80957C30
	s_add_u32 s84, s83, s84                                    // 000000004240: 80545453
	s_addc_u32 s85, 0, s85                                     // 000000004244: 82555580
	v_mfma_i32_16x16x32_i8 v[144:147], a[172:173], a[12:13], v[144:147]// 000000004248: D3D70090 1E4219AC
	v_mfma_i32_16x16x32_i8 v[144:147], a[174:175], a[14:15], v[144:147]// 000000004250: D3D70090 1E421DAE
	s_addk_i32 s80, 0x80                                       // 000000004258: B7500080
	s_cmp_lt_i32 s80, s81                                      // 00000000425C: BF045150
	s_cbranch_scc0 label_08F7                                  // 000000004260: BF84035E
	s_waitcnt vmcnt(16) lgkmcnt(0)                             // 000000004264: BF8C4070
	v_mfma_i32_16x16x32_i8 v[52:55], a[32:33], a[16:17], v[52:55]// 000000004268: D3D70034 1CD22120
	v_mfma_i32_16x16x32_i8 v[52:55], a[34:35], a[18:19], v[52:55]// 000000004270: D3D70034 1CD22522
	buffer_load_dwordx4 a[128:131], v43, s[24:27], 0 offen     // 000000004278: E05C1000 8086802B
	v_mfma_i32_16x16x32_i8 v[52:55], a[36:37], a[20:21], v[52:55]// 000000004280: D3D70034 1CD22924
	v_mfma_i32_16x16x32_i8 v[52:55], a[38:39], a[22:23], v[52:55]// 000000004288: D3D70034 1CD22D26
	v_mfma_i32_16x16x32_i8 v[60:63], a[40:41], a[16:17], v[60:63]// 000000004290: D3D7003C 1CF22128
	v_mfma_i32_16x16x32_i8 v[60:63], a[42:43], a[18:19], v[60:63]// 000000004298: D3D7003C 1CF2252A
	buffer_load_dwordx4 a[132:135], v43, s[24:27], 0 offen offset:1024// 0000000042A0: E05C1400 8086842B
	v_mfma_i32_16x16x32_i8 v[60:63], a[44:45], a[20:21], v[60:63]// 0000000042A8: D3D7003C 1CF2292C
	v_mfma_i32_16x16x32_i8 v[60:63], a[46:47], a[22:23], v[60:63]// 0000000042B0: D3D7003C 1CF22D2E
	v_mfma_i32_16x16x32_i8 v[68:71], a[48:49], a[16:17], v[68:71]// 0000000042B8: D3D70044 1D122130
	v_mfma_i32_16x16x32_i8 v[68:71], a[50:51], a[18:19], v[68:71]// 0000000042C0: D3D70044 1D122532
	buffer_load_dwordx4 a[136:139], v44, s[24:27], 0 offen     // 0000000042C8: E05C1000 8086882C
	v_mfma_i32_16x16x32_i8 v[68:71], a[52:53], a[20:21], v[68:71]// 0000000042D0: D3D70044 1D122934
	v_mfma_i32_16x16x32_i8 v[68:71], a[54:55], a[22:23], v[68:71]// 0000000042D8: D3D70044 1D122D36
	v_mfma_i32_16x16x32_i8 v[76:79], a[56:57], a[16:17], v[76:79]// 0000000042E0: D3D7004C 1D322138
	v_mfma_i32_16x16x32_i8 v[76:79], a[58:59], a[18:19], v[76:79]// 0000000042E8: D3D7004C 1D32253A
	buffer_load_dwordx4 a[140:143], v44, s[24:27], 0 offen offset:1024// 0000000042F0: E05C1400 80868C2C
	v_mfma_i32_16x16x32_i8 v[76:79], a[60:61], a[20:21], v[76:79]// 0000000042F8: D3D7004C 1D32293C
	v_mfma_i32_16x16x32_i8 v[76:79], a[62:63], a[22:23], v[76:79]// 000000004300: D3D7004C 1D322D3E
	v_mfma_i32_16x16x32_i8 v[84:87], a[64:65], a[16:17], v[84:87]// 000000004308: D3D70054 1D522140
	v_mfma_i32_16x16x32_i8 v[84:87], a[66:67], a[18:19], v[84:87]// 000000004310: D3D70054 1D522542
	buffer_load_dwordx4 a[144:147], v45, s[24:27], 0 offen     // 000000004318: E05C1000 8086902D
	v_mfma_i32_16x16x32_i8 v[84:87], a[68:69], a[20:21], v[84:87]// 000000004320: D3D70054 1D522944
	v_mfma_i32_16x16x32_i8 v[84:87], a[70:71], a[22:23], v[84:87]// 000000004328: D3D70054 1D522D46
	v_mfma_i32_16x16x32_i8 v[92:95], a[72:73], a[16:17], v[92:95]// 000000004330: D3D7005C 1D722148
	v_mfma_i32_16x16x32_i8 v[92:95], a[74:75], a[18:19], v[92:95]// 000000004338: D3D7005C 1D72254A
	buffer_load_dwordx4 a[148:151], v45, s[24:27], 0 offen offset:1024// 000000004340: E05C1400 8086942D
	v_mfma_i32_16x16x32_i8 v[92:95], a[76:77], a[20:21], v[92:95]// 000000004348: D3D7005C 1D72294C
	v_mfma_i32_16x16x32_i8 v[92:95], a[78:79], a[22:23], v[92:95]// 000000004350: D3D7005C 1D722D4E
	v_mfma_i32_16x16x32_i8 v[56:59], a[32:33], a[24:25], v[56:59]// 000000004358: D3D70038 1CE23120
	v_mfma_i32_16x16x32_i8 v[56:59], a[34:35], a[26:27], v[56:59]// 000000004360: D3D70038 1CE23522
	buffer_load_dwordx4 a[152:155], v46, s[24:27], 0 offen     // 000000004368: E05C1000 8086982E
	v_mfma_i32_16x16x32_i8 v[56:59], a[36:37], a[28:29], v[56:59]// 000000004370: D3D70038 1CE23924
	v_mfma_i32_16x16x32_i8 v[56:59], a[38:39], a[30:31], v[56:59]// 000000004378: D3D70038 1CE23D26
	v_mfma_i32_16x16x32_i8 v[64:67], a[40:41], a[24:25], v[64:67]// 000000004380: D3D70040 1D023128
	v_mfma_i32_16x16x32_i8 v[64:67], a[42:43], a[26:27], v[64:67]// 000000004388: D3D70040 1D02352A
	buffer_load_dwordx4 a[156:159], v46, s[24:27], 0 offen offset:1024// 000000004390: E05C1400 80869C2E
	v_mfma_i32_16x16x32_i8 v[64:67], a[44:45], a[28:29], v[64:67]// 000000004398: D3D70040 1D02392C
	v_mfma_i32_16x16x32_i8 v[64:67], a[46:47], a[30:31], v[64:67]// 0000000043A0: D3D70040 1D023D2E
	v_mfma_i32_16x16x32_i8 v[72:75], a[48:49], a[24:25], v[72:75]// 0000000043A8: D3D70048 1D223130
	v_mfma_i32_16x16x32_i8 v[72:75], a[50:51], a[26:27], v[72:75]// 0000000043B0: D3D70048 1D223532
	buffer_load_dwordx4 a[160:163], v47, s[24:27], 0 offen     // 0000000043B8: E05C1000 8086A02F
	v_mfma_i32_16x16x32_i8 v[72:75], a[52:53], a[28:29], v[72:75]// 0000000043C0: D3D70048 1D223934
	v_mfma_i32_16x16x32_i8 v[72:75], a[54:55], a[30:31], v[72:75]// 0000000043C8: D3D70048 1D223D36
	v_mfma_i32_16x16x32_i8 v[80:83], a[56:57], a[24:25], v[80:83]// 0000000043D0: D3D70050 1D423138
	v_mfma_i32_16x16x32_i8 v[80:83], a[58:59], a[26:27], v[80:83]// 0000000043D8: D3D70050 1D42353A
	buffer_load_dwordx4 a[164:167], v47, s[24:27], 0 offen offset:1024// 0000000043E0: E05C1400 8086A42F
	v_mfma_i32_16x16x32_i8 v[80:83], a[60:61], a[28:29], v[80:83]// 0000000043E8: D3D70050 1D42393C
	v_mfma_i32_16x16x32_i8 v[80:83], a[62:63], a[30:31], v[80:83]// 0000000043F0: D3D70050 1D423D3E
	v_mfma_i32_16x16x32_i8 v[88:91], a[64:65], a[24:25], v[88:91]// 0000000043F8: D3D70058 1D623140
	v_mfma_i32_16x16x32_i8 v[88:91], a[66:67], a[26:27], v[88:91]// 000000004400: D3D70058 1D623542
	buffer_load_dwordx4 a[168:171], v48, s[24:27], 0 offen     // 000000004408: E05C1000 8086A830
	v_mfma_i32_16x16x32_i8 v[88:91], a[68:69], a[28:29], v[88:91]// 000000004410: D3D70058 1D623944
	v_mfma_i32_16x16x32_i8 v[88:91], a[70:71], a[30:31], v[88:91]// 000000004418: D3D70058 1D623D46
	v_mfma_i32_16x16x32_i8 v[96:99], a[72:73], a[24:25], v[96:99]// 000000004420: D3D70060 1D823148
	v_mfma_i32_16x16x32_i8 v[96:99], a[74:75], a[26:27], v[96:99]// 000000004428: D3D70060 1D82354A
	buffer_load_dwordx4 a[172:175], v48, s[24:27], 0 offen offset:1024// 000000004430: E05C1400 8086AC30
	buffer_load_dword v39, s[20:23], 0 offen lds               // 000000004438: E0511000 80050027
	s_add_u32 m0, 0x100, s50                                   // 000000004440: 807C32FF 00000100
	v_mfma_i32_16x16x32_i8 v[96:99], a[76:77], a[28:29], v[96:99]// 000000004448: D3D70060 1D82394C
	v_mfma_i32_16x16x32_i8 v[96:99], a[78:79], a[30:31], v[96:99]// 000000004450: D3D70060 1D823D4E
	buffer_load_dword v40, s[20:23], 0 offen lds               // 000000004458: E0511000 80050028
	s_add_u32 m0, 0x200, s50                                   // 000000004460: 807C32FF 00000200
	buffer_load_dword v41, s[20:23], 0 offen lds               // 000000004468: E0511000 80050029
	s_add_u32 m0, 0x300, s50                                   // 000000004470: 807C32FF 00000300
	buffer_load_dword v42, s[20:23], 0 offen lds               // 000000004478: E0511000 8005002A
	s_add_u32 m0, 0, s48                                       // 000000004480: 807C3080
	s_waitcnt vmcnt(16)                                        // 000000004484: BF8C4F70
	s_barrier                                                  // 000000004488: BF8A0000
	v_mfma_i32_16x16x32_i8 v[100:103], a[80:81], a[16:17], v[100:103]// 00000000448C: D3D70064 1D922150
	v_mfma_i32_16x16x32_i8 v[100:103], a[82:83], a[18:19], v[100:103]// 000000004494: D3D70064 1D922552
	buffer_load_dwordx4 a[32:35], v43, s[84:87], 0 offen       // 00000000449C: E05C1000 8095202B
	v_mfma_i32_16x16x32_i8 v[100:103], a[84:85], a[20:21], v[100:103]// 0000000044A4: D3D70064 1D922954
	v_mfma_i32_16x16x32_i8 v[100:103], a[86:87], a[22:23], v[100:103]// 0000000044AC: D3D70064 1D922D56
	ds_read_b128 a[0:3], v2 offset:4224                        // 0000000044B4: DBFE1080 00000002
	ds_read_b128 a[4:7], v2 offset:4288                        // 0000000044BC: DBFE10C0 04000002
	v_mfma_i32_16x16x32_i8 v[108:111], a[88:89], a[16:17], v[108:111]// 0000000044C4: D3D7006C 1DB22158
	v_mfma_i32_16x16x32_i8 v[108:111], a[90:91], a[18:19], v[108:111]// 0000000044CC: D3D7006C 1DB2255A
	buffer_load_dwordx4 a[36:39], v43, s[84:87], 0 offen offset:1024// 0000000044D4: E05C1400 8095242B
	v_mfma_i32_16x16x32_i8 v[108:111], a[92:93], a[20:21], v[108:111]// 0000000044DC: D3D7006C 1DB2295C
	v_mfma_i32_16x16x32_i8 v[108:111], a[94:95], a[22:23], v[108:111]// 0000000044E4: D3D7006C 1DB22D5E
	ds_read_b128 a[8:11], v2 offset:4736                       // 0000000044EC: DBFE1280 08000002
	ds_read_b128 a[12:15], v2 offset:4800                      // 0000000044F4: DBFE12C0 0C000002
	v_mfma_i32_16x16x32_i8 v[116:119], a[96:97], a[16:17], v[116:119]// 0000000044FC: D3D70074 1DD22160
	v_mfma_i32_16x16x32_i8 v[116:119], a[98:99], a[18:19], v[116:119]// 000000004504: D3D70074 1DD22562
	buffer_load_dwordx4 a[40:43], v44, s[84:87], 0 offen       // 00000000450C: E05C1000 8095282C
	v_mfma_i32_16x16x32_i8 v[116:119], a[100:101], a[20:21], v[116:119]// 000000004514: D3D70074 1DD22964
	v_mfma_i32_16x16x32_i8 v[116:119], a[102:103], a[22:23], v[116:119]// 00000000451C: D3D70074 1DD22D66
	v_mfma_i32_16x16x32_i8 v[124:127], a[104:105], a[16:17], v[124:127]// 000000004524: D3D7007C 1DF22168
	v_mfma_i32_16x16x32_i8 v[124:127], a[106:107], a[18:19], v[124:127]// 00000000452C: D3D7007C 1DF2256A
	buffer_load_dwordx4 a[44:47], v44, s[84:87], 0 offen offset:1024// 000000004534: E05C1400 80952C2C
	v_mfma_i32_16x16x32_i8 v[124:127], a[108:109], a[20:21], v[124:127]// 00000000453C: D3D7007C 1DF2296C
	v_mfma_i32_16x16x32_i8 v[124:127], a[110:111], a[22:23], v[124:127]// 000000004544: D3D7007C 1DF22D6E
	v_mfma_i32_16x16x32_i8 v[132:135], a[112:113], a[16:17], v[132:135]// 00000000454C: D3D70084 1E122170
	v_mfma_i32_16x16x32_i8 v[132:135], a[114:115], a[18:19], v[132:135]// 000000004554: D3D70084 1E122572
	buffer_load_dwordx4 a[48:51], v45, s[84:87], 0 offen       // 00000000455C: E05C1000 8095302D
	v_mfma_i32_16x16x32_i8 v[132:135], a[116:117], a[20:21], v[132:135]// 000000004564: D3D70084 1E122974
	v_mfma_i32_16x16x32_i8 v[132:135], a[118:119], a[22:23], v[132:135]// 00000000456C: D3D70084 1E122D76
	v_mfma_i32_16x16x32_i8 v[140:143], a[120:121], a[16:17], v[140:143]// 000000004574: D3D7008C 1E322178
	v_mfma_i32_16x16x32_i8 v[140:143], a[122:123], a[18:19], v[140:143]// 00000000457C: D3D7008C 1E32257A
	buffer_load_dwordx4 a[52:55], v45, s[84:87], 0 offen offset:1024// 000000004584: E05C1400 8095342D
	v_mfma_i32_16x16x32_i8 v[140:143], a[124:125], a[20:21], v[140:143]// 00000000458C: D3D7008C 1E32297C
	v_mfma_i32_16x16x32_i8 v[140:143], a[126:127], a[22:23], v[140:143]// 000000004594: D3D7008C 1E322D7E
	v_mfma_i32_16x16x32_i8 v[104:107], a[80:81], a[24:25], v[104:107]// 00000000459C: D3D70068 1DA23150
	v_mfma_i32_16x16x32_i8 v[104:107], a[82:83], a[26:27], v[104:107]// 0000000045A4: D3D70068 1DA23552
	buffer_load_dwordx4 a[56:59], v46, s[84:87], 0 offen       // 0000000045AC: E05C1000 8095382E
	v_mfma_i32_16x16x32_i8 v[104:107], a[84:85], a[28:29], v[104:107]// 0000000045B4: D3D70068 1DA23954
	v_mfma_i32_16x16x32_i8 v[104:107], a[86:87], a[30:31], v[104:107]// 0000000045BC: D3D70068 1DA23D56
	v_mfma_i32_16x16x32_i8 v[112:115], a[88:89], a[24:25], v[112:115]// 0000000045C4: D3D70070 1DC23158
	v_mfma_i32_16x16x32_i8 v[112:115], a[90:91], a[26:27], v[112:115]// 0000000045CC: D3D70070 1DC2355A
	buffer_load_dwordx4 a[60:63], v46, s[84:87], 0 offen offset:1024// 0000000045D4: E05C1400 80953C2E
	v_mfma_i32_16x16x32_i8 v[112:115], a[92:93], a[28:29], v[112:115]// 0000000045DC: D3D70070 1DC2395C
	v_mfma_i32_16x16x32_i8 v[112:115], a[94:95], a[30:31], v[112:115]// 0000000045E4: D3D70070 1DC23D5E
	v_mfma_i32_16x16x32_i8 v[120:123], a[96:97], a[24:25], v[120:123]// 0000000045EC: D3D70078 1DE23160
	v_mfma_i32_16x16x32_i8 v[120:123], a[98:99], a[26:27], v[120:123]// 0000000045F4: D3D70078 1DE23562
	buffer_load_dwordx4 a[64:67], v47, s[84:87], 0 offen       // 0000000045FC: E05C1000 8095402F
	v_mfma_i32_16x16x32_i8 v[120:123], a[100:101], a[28:29], v[120:123]// 000000004604: D3D70078 1DE23964
	v_mfma_i32_16x16x32_i8 v[120:123], a[102:103], a[30:31], v[120:123]// 00000000460C: D3D70078 1DE23D66
	v_mfma_i32_16x16x32_i8 v[128:131], a[104:105], a[24:25], v[128:131]// 000000004614: D3D70080 1E023168
	v_mfma_i32_16x16x32_i8 v[128:131], a[106:107], a[26:27], v[128:131]// 00000000461C: D3D70080 1E02356A
	buffer_load_dwordx4 a[68:71], v47, s[84:87], 0 offen offset:1024// 000000004624: E05C1400 8095442F
	v_mfma_i32_16x16x32_i8 v[128:131], a[108:109], a[28:29], v[128:131]// 00000000462C: D3D70080 1E02396C
	v_mfma_i32_16x16x32_i8 v[128:131], a[110:111], a[30:31], v[128:131]// 000000004634: D3D70080 1E023D6E
	v_mfma_i32_16x16x32_i8 v[136:139], a[112:113], a[24:25], v[136:139]// 00000000463C: D3D70088 1E223170
	s_add_u32 s60, 0x180, s80                                  // 000000004644: 803C50FF 00000180
	s_cmp_lt_u32 s60, s81                                      // 00000000464C: BF0A513C
	s_cselect_b32 s57, s57, 0                                  // 000000004650: 85398039
	v_mfma_i32_16x16x32_i8 v[136:139], a[114:115], a[26:27], v[136:139]// 000000004654: D3D70088 1E223572
	buffer_load_dwordx4 a[72:75], v48, s[84:87], 0 offen       // 00000000465C: E05C1000 80954830
	s_add_u32 s60, 0x100, s80                                  // 000000004664: 803C50FF 00000100
	s_cmp_lt_u32 s60, s81                                      // 00000000466C: BF0A513C
	s_cselect_b32 s58, s58, 0                                  // 000000004670: 853A803A
	v_mfma_i32_16x16x32_i8 v[136:139], a[116:117], a[28:29], v[136:139]// 000000004674: D3D70088 1E223974
	s_add_u32 s60, 0x100, s80                                  // 00000000467C: 803C50FF 00000100
	s_cmp_lt_u32 s60, s81                                      // 000000004684: BF0A513C
	s_cselect_b32 s83, s83, 0                                  // 000000004688: 85538053
	v_mfma_i32_16x16x32_i8 v[136:139], a[118:119], a[30:31], v[136:139]// 00000000468C: D3D70088 1E223D76
	s_add_u32 s24, s58, s24                                    // 000000004694: 8018183A
	s_addc_u32 s25, 0, s25                                     // 000000004698: 82191980
	v_mfma_i32_16x16x32_i8 v[144:147], a[120:121], a[24:25], v[144:147]// 00000000469C: D3D70090 1E423178
	s_add_u32 s20, s57, s20                                    // 0000000046A4: 80141439
	s_addc_u32 s21, 0, s21                                     // 0000000046A8: 82151580
	v_mfma_i32_16x16x32_i8 v[144:147], a[122:123], a[26:27], v[144:147]// 0000000046AC: D3D70090 1E42357A
	buffer_load_dwordx4 a[76:79], v48, s[84:87], 0 offen offset:1024// 0000000046B4: E05C1400 80954C30
	s_add_u32 s84, s83, s84                                    // 0000000046BC: 80545453
	s_addc_u32 s85, 0, s85                                     // 0000000046C0: 82555580
	v_mfma_i32_16x16x32_i8 v[144:147], a[124:125], a[28:29], v[144:147]// 0000000046C4: D3D70090 1E42397C
	v_mfma_i32_16x16x32_i8 v[144:147], a[126:127], a[30:31], v[144:147]// 0000000046CC: D3D70090 1E423D7E
	s_addk_i32 s80, 0x80                                       // 0000000046D4: B7500080
	s_cmp_lt_i32 s80, s81                                      // 0000000046D8: BF045150
	s_cbranch_scc0 label_08F7                                  // 0000000046DC: BF84023F
	s_waitcnt vmcnt(16) lgkmcnt(0)                             // 0000000046E0: BF8C4070
	v_mfma_i32_16x16x32_i8 v[52:55], a[128:129], a[0:1], v[52:55]// 0000000046E4: D3D70034 1CD20180
	v_mfma_i32_16x16x32_i8 v[52:55], a[130:131], a[2:3], v[52:55]// 0000000046EC: D3D70034 1CD20582
	buffer_load_dwordx4 a[80:83], v43, s[24:27], 0 offen       // 0000000046F4: E05C1000 8086502B
	v_mfma_i32_16x16x32_i8 v[52:55], a[132:133], a[4:5], v[52:55]// 0000000046FC: D3D70034 1CD20984
	v_mfma_i32_16x16x32_i8 v[52:55], a[134:135], a[6:7], v[52:55]// 000000004704: D3D70034 1CD20D86
	v_mfma_i32_16x16x32_i8 v[60:63], a[136:137], a[0:1], v[60:63]// 00000000470C: D3D7003C 1CF20188
	v_mfma_i32_16x16x32_i8 v[60:63], a[138:139], a[2:3], v[60:63]// 000000004714: D3D7003C 1CF2058A
	buffer_load_dwordx4 a[84:87], v43, s[24:27], 0 offen offset:1024// 00000000471C: E05C1400 8086542B
	v_mfma_i32_16x16x32_i8 v[60:63], a[140:141], a[4:5], v[60:63]// 000000004724: D3D7003C 1CF2098C
	v_mfma_i32_16x16x32_i8 v[60:63], a[142:143], a[6:7], v[60:63]// 00000000472C: D3D7003C 1CF20D8E
	v_mfma_i32_16x16x32_i8 v[68:71], a[144:145], a[0:1], v[68:71]// 000000004734: D3D70044 1D120190
	v_mfma_i32_16x16x32_i8 v[68:71], a[146:147], a[2:3], v[68:71]// 00000000473C: D3D70044 1D120592
	buffer_load_dwordx4 a[88:91], v44, s[24:27], 0 offen       // 000000004744: E05C1000 8086582C
	v_mfma_i32_16x16x32_i8 v[68:71], a[148:149], a[4:5], v[68:71]// 00000000474C: D3D70044 1D120994
	v_mfma_i32_16x16x32_i8 v[68:71], a[150:151], a[6:7], v[68:71]// 000000004754: D3D70044 1D120D96
	v_mfma_i32_16x16x32_i8 v[76:79], a[152:153], a[0:1], v[76:79]// 00000000475C: D3D7004C 1D320198
	v_mfma_i32_16x16x32_i8 v[76:79], a[154:155], a[2:3], v[76:79]// 000000004764: D3D7004C 1D32059A
	buffer_load_dwordx4 a[92:95], v44, s[24:27], 0 offen offset:1024// 00000000476C: E05C1400 80865C2C
	v_mfma_i32_16x16x32_i8 v[76:79], a[156:157], a[4:5], v[76:79]// 000000004774: D3D7004C 1D32099C
	v_mfma_i32_16x16x32_i8 v[76:79], a[158:159], a[6:7], v[76:79]// 00000000477C: D3D7004C 1D320D9E
	v_mfma_i32_16x16x32_i8 v[84:87], a[160:161], a[0:1], v[84:87]// 000000004784: D3D70054 1D5201A0
	v_mfma_i32_16x16x32_i8 v[84:87], a[162:163], a[2:3], v[84:87]// 00000000478C: D3D70054 1D5205A2
	buffer_load_dwordx4 a[96:99], v45, s[24:27], 0 offen       // 000000004794: E05C1000 8086602D
	v_mfma_i32_16x16x32_i8 v[84:87], a[164:165], a[4:5], v[84:87]// 00000000479C: D3D70054 1D5209A4
	v_mfma_i32_16x16x32_i8 v[84:87], a[166:167], a[6:7], v[84:87]// 0000000047A4: D3D70054 1D520DA6
	v_mfma_i32_16x16x32_i8 v[92:95], a[168:169], a[0:1], v[92:95]// 0000000047AC: D3D7005C 1D7201A8
	v_mfma_i32_16x16x32_i8 v[92:95], a[170:171], a[2:3], v[92:95]// 0000000047B4: D3D7005C 1D7205AA
	buffer_load_dwordx4 a[100:103], v45, s[24:27], 0 offen offset:1024// 0000000047BC: E05C1400 8086642D
	v_mfma_i32_16x16x32_i8 v[92:95], a[172:173], a[4:5], v[92:95]// 0000000047C4: D3D7005C 1D7209AC
	v_mfma_i32_16x16x32_i8 v[92:95], a[174:175], a[6:7], v[92:95]// 0000000047CC: D3D7005C 1D720DAE
	v_mfma_i32_16x16x32_i8 v[56:59], a[128:129], a[8:9], v[56:59]// 0000000047D4: D3D70038 1CE21180
	v_mfma_i32_16x16x32_i8 v[56:59], a[130:131], a[10:11], v[56:59]// 0000000047DC: D3D70038 1CE21582
	buffer_load_dwordx4 a[104:107], v46, s[24:27], 0 offen     // 0000000047E4: E05C1000 8086682E
	v_mfma_i32_16x16x32_i8 v[56:59], a[132:133], a[12:13], v[56:59]// 0000000047EC: D3D70038 1CE21984
	v_mfma_i32_16x16x32_i8 v[56:59], a[134:135], a[14:15], v[56:59]// 0000000047F4: D3D70038 1CE21D86
	v_mfma_i32_16x16x32_i8 v[64:67], a[136:137], a[8:9], v[64:67]// 0000000047FC: D3D70040 1D021188
	v_mfma_i32_16x16x32_i8 v[64:67], a[138:139], a[10:11], v[64:67]// 000000004804: D3D70040 1D02158A
	buffer_load_dwordx4 a[108:111], v46, s[24:27], 0 offen offset:1024// 00000000480C: E05C1400 80866C2E
	v_mfma_i32_16x16x32_i8 v[64:67], a[140:141], a[12:13], v[64:67]// 000000004814: D3D70040 1D02198C
	v_mfma_i32_16x16x32_i8 v[64:67], a[142:143], a[14:15], v[64:67]// 00000000481C: D3D70040 1D021D8E
	v_mfma_i32_16x16x32_i8 v[72:75], a[144:145], a[8:9], v[72:75]// 000000004824: D3D70048 1D221190
	v_mfma_i32_16x16x32_i8 v[72:75], a[146:147], a[10:11], v[72:75]// 00000000482C: D3D70048 1D221592
	buffer_load_dwordx4 a[112:115], v47, s[24:27], 0 offen     // 000000004834: E05C1000 8086702F
	v_mfma_i32_16x16x32_i8 v[72:75], a[148:149], a[12:13], v[72:75]// 00000000483C: D3D70048 1D221994
	v_mfma_i32_16x16x32_i8 v[72:75], a[150:151], a[14:15], v[72:75]// 000000004844: D3D70048 1D221D96
	v_mfma_i32_16x16x32_i8 v[80:83], a[152:153], a[8:9], v[80:83]// 00000000484C: D3D70050 1D421198
	v_mfma_i32_16x16x32_i8 v[80:83], a[154:155], a[10:11], v[80:83]// 000000004854: D3D70050 1D42159A
	buffer_load_dwordx4 a[116:119], v47, s[24:27], 0 offen offset:1024// 00000000485C: E05C1400 8086742F
	v_mfma_i32_16x16x32_i8 v[80:83], a[156:157], a[12:13], v[80:83]// 000000004864: D3D70050 1D42199C
	v_mfma_i32_16x16x32_i8 v[80:83], a[158:159], a[14:15], v[80:83]// 00000000486C: D3D70050 1D421D9E
	v_mfma_i32_16x16x32_i8 v[88:91], a[160:161], a[8:9], v[88:91]// 000000004874: D3D70058 1D6211A0
	v_mfma_i32_16x16x32_i8 v[88:91], a[162:163], a[10:11], v[88:91]// 00000000487C: D3D70058 1D6215A2
	buffer_load_dwordx4 a[120:123], v48, s[24:27], 0 offen     // 000000004884: E05C1000 80867830
	v_mfma_i32_16x16x32_i8 v[88:91], a[164:165], a[12:13], v[88:91]// 00000000488C: D3D70058 1D6219A4
	v_mfma_i32_16x16x32_i8 v[88:91], a[166:167], a[14:15], v[88:91]// 000000004894: D3D70058 1D621DA6
	v_mfma_i32_16x16x32_i8 v[96:99], a[168:169], a[8:9], v[96:99]// 00000000489C: D3D70060 1D8211A8
	v_mfma_i32_16x16x32_i8 v[96:99], a[170:171], a[10:11], v[96:99]// 0000000048A4: D3D70060 1D8215AA
	buffer_load_dwordx4 a[124:127], v48, s[24:27], 0 offen offset:1024// 0000000048AC: E05C1400 80867C30
	buffer_load_dword v39, s[20:23], 0 offen lds               // 0000000048B4: E0511000 80050027
	s_add_u32 m0, 0x100, s48                                   // 0000000048BC: 807C30FF 00000100
	v_mfma_i32_16x16x32_i8 v[96:99], a[172:173], a[12:13], v[96:99]// 0000000048C4: D3D70060 1D8219AC
	v_mfma_i32_16x16x32_i8 v[96:99], a[174:175], a[14:15], v[96:99]// 0000000048CC: D3D70060 1D821DAE
	buffer_load_dword v40, s[20:23], 0 offen lds               // 0000000048D4: E0511000 80050028
	s_add_u32 m0, 0x200, s48                                   // 0000000048DC: 807C30FF 00000200
	buffer_load_dword v41, s[20:23], 0 offen lds               // 0000000048E4: E0511000 80050029
	s_add_u32 m0, 0x300, s48                                   // 0000000048EC: 807C30FF 00000300
	buffer_load_dword v42, s[20:23], 0 offen lds               // 0000000048F4: E0511000 8005002A
	s_add_u32 m0, 0, s49                                       // 0000000048FC: 807C3180
	s_waitcnt vmcnt(16)                                        // 000000004900: BF8C4F70
	s_barrier                                                  // 000000004904: BF8A0000
	v_mfma_i32_16x16x32_i8 v[100:103], a[32:33], a[0:1], v[100:103]// 000000004908: D3D70064 1D920120
	v_mfma_i32_16x16x32_i8 v[100:103], a[34:35], a[2:3], v[100:103]// 000000004910: D3D70064 1D920522
	buffer_load_dwordx4 a[128:131], v43, s[84:87], 0 offen     // 000000004918: E05C1000 8095802B
	v_mfma_i32_16x16x32_i8 v[100:103], a[36:37], a[4:5], v[100:103]// 000000004920: D3D70064 1D920924
	v_mfma_i32_16x16x32_i8 v[100:103], a[38:39], a[6:7], v[100:103]// 000000004928: D3D70064 1D920D26
	ds_read_b128 a[16:19], v2 offset:8448                      // 000000004930: DBFE2100 10000002
	ds_read_b128 a[20:23], v2 offset:8512                      // 000000004938: DBFE2140 14000002
	v_mfma_i32_16x16x32_i8 v[108:111], a[40:41], a[0:1], v[108:111]// 000000004940: D3D7006C 1DB20128
	v_mfma_i32_16x16x32_i8 v[108:111], a[42:43], a[2:3], v[108:111]// 000000004948: D3D7006C 1DB2052A
	buffer_load_dwordx4 a[132:135], v43, s[84:87], 0 offen offset:1024// 000000004950: E05C1400 8095842B
	v_mfma_i32_16x16x32_i8 v[108:111], a[44:45], a[4:5], v[108:111]// 000000004958: D3D7006C 1DB2092C
	v_mfma_i32_16x16x32_i8 v[108:111], a[46:47], a[6:7], v[108:111]// 000000004960: D3D7006C 1DB20D2E
	ds_read_b128 a[24:27], v2 offset:8960                      // 000000004968: DBFE2300 18000002
	ds_read_b128 a[28:31], v2 offset:9024                      // 000000004970: DBFE2340 1C000002
	v_mfma_i32_16x16x32_i8 v[116:119], a[48:49], a[0:1], v[116:119]// 000000004978: D3D70074 1DD20130
	v_mfma_i32_16x16x32_i8 v[116:119], a[50:51], a[2:3], v[116:119]// 000000004980: D3D70074 1DD20532
	buffer_load_dwordx4 a[136:139], v44, s[84:87], 0 offen     // 000000004988: E05C1000 8095882C
	v_mfma_i32_16x16x32_i8 v[116:119], a[52:53], a[4:5], v[116:119]// 000000004990: D3D70074 1DD20934
	v_mfma_i32_16x16x32_i8 v[116:119], a[54:55], a[6:7], v[116:119]// 000000004998: D3D70074 1DD20D36
	v_mfma_i32_16x16x32_i8 v[124:127], a[56:57], a[0:1], v[124:127]// 0000000049A0: D3D7007C 1DF20138
	v_mfma_i32_16x16x32_i8 v[124:127], a[58:59], a[2:3], v[124:127]// 0000000049A8: D3D7007C 1DF2053A
	buffer_load_dwordx4 a[140:143], v44, s[84:87], 0 offen offset:1024// 0000000049B0: E05C1400 80958C2C
	v_mfma_i32_16x16x32_i8 v[124:127], a[60:61], a[4:5], v[124:127]// 0000000049B8: D3D7007C 1DF2093C
	v_mfma_i32_16x16x32_i8 v[124:127], a[62:63], a[6:7], v[124:127]// 0000000049C0: D3D7007C 1DF20D3E
	v_mfma_i32_16x16x32_i8 v[132:135], a[64:65], a[0:1], v[132:135]// 0000000049C8: D3D70084 1E120140
	v_mfma_i32_16x16x32_i8 v[132:135], a[66:67], a[2:3], v[132:135]// 0000000049D0: D3D70084 1E120542
	buffer_load_dwordx4 a[144:147], v45, s[84:87], 0 offen     // 0000000049D8: E05C1000 8095902D
	v_mfma_i32_16x16x32_i8 v[132:135], a[68:69], a[4:5], v[132:135]// 0000000049E0: D3D70084 1E120944
	v_mfma_i32_16x16x32_i8 v[132:135], a[70:71], a[6:7], v[132:135]// 0000000049E8: D3D70084 1E120D46
	v_mfma_i32_16x16x32_i8 v[140:143], a[72:73], a[0:1], v[140:143]// 0000000049F0: D3D7008C 1E320148
	v_mfma_i32_16x16x32_i8 v[140:143], a[74:75], a[2:3], v[140:143]// 0000000049F8: D3D7008C 1E32054A
	buffer_load_dwordx4 a[148:151], v45, s[84:87], 0 offen offset:1024// 000000004A00: E05C1400 8095942D
	v_mfma_i32_16x16x32_i8 v[140:143], a[76:77], a[4:5], v[140:143]// 000000004A08: D3D7008C 1E32094C
	v_mfma_i32_16x16x32_i8 v[140:143], a[78:79], a[6:7], v[140:143]// 000000004A10: D3D7008C 1E320D4E
	v_mfma_i32_16x16x32_i8 v[104:107], a[32:33], a[8:9], v[104:107]// 000000004A18: D3D70068 1DA21120
	v_mfma_i32_16x16x32_i8 v[104:107], a[34:35], a[10:11], v[104:107]// 000000004A20: D3D70068 1DA21522
	buffer_load_dwordx4 a[152:155], v46, s[84:87], 0 offen     // 000000004A28: E05C1000 8095982E
	v_mfma_i32_16x16x32_i8 v[104:107], a[36:37], a[12:13], v[104:107]// 000000004A30: D3D70068 1DA21924
	v_mfma_i32_16x16x32_i8 v[104:107], a[38:39], a[14:15], v[104:107]// 000000004A38: D3D70068 1DA21D26
	v_mfma_i32_16x16x32_i8 v[112:115], a[40:41], a[8:9], v[112:115]// 000000004A40: D3D70070 1DC21128
	v_mfma_i32_16x16x32_i8 v[112:115], a[42:43], a[10:11], v[112:115]// 000000004A48: D3D70070 1DC2152A
	buffer_load_dwordx4 a[156:159], v46, s[84:87], 0 offen offset:1024// 000000004A50: E05C1400 80959C2E
	v_mfma_i32_16x16x32_i8 v[112:115], a[44:45], a[12:13], v[112:115]// 000000004A58: D3D70070 1DC2192C
	v_mfma_i32_16x16x32_i8 v[112:115], a[46:47], a[14:15], v[112:115]// 000000004A60: D3D70070 1DC21D2E
	v_mfma_i32_16x16x32_i8 v[120:123], a[48:49], a[8:9], v[120:123]// 000000004A68: D3D70078 1DE21130
	v_mfma_i32_16x16x32_i8 v[120:123], a[50:51], a[10:11], v[120:123]// 000000004A70: D3D70078 1DE21532
	buffer_load_dwordx4 a[160:163], v47, s[84:87], 0 offen     // 000000004A78: E05C1000 8095A02F
	v_mfma_i32_16x16x32_i8 v[120:123], a[52:53], a[12:13], v[120:123]// 000000004A80: D3D70078 1DE21934
	v_mfma_i32_16x16x32_i8 v[120:123], a[54:55], a[14:15], v[120:123]// 000000004A88: D3D70078 1DE21D36
	v_mfma_i32_16x16x32_i8 v[128:131], a[56:57], a[8:9], v[128:131]// 000000004A90: D3D70080 1E021138
	v_mfma_i32_16x16x32_i8 v[128:131], a[58:59], a[10:11], v[128:131]// 000000004A98: D3D70080 1E02153A
	buffer_load_dwordx4 a[164:167], v47, s[84:87], 0 offen offset:1024// 000000004AA0: E05C1400 8095A42F
	v_mfma_i32_16x16x32_i8 v[128:131], a[60:61], a[12:13], v[128:131]// 000000004AA8: D3D70080 1E02193C
	v_mfma_i32_16x16x32_i8 v[128:131], a[62:63], a[14:15], v[128:131]// 000000004AB0: D3D70080 1E021D3E
	v_mfma_i32_16x16x32_i8 v[136:139], a[64:65], a[8:9], v[136:139]// 000000004AB8: D3D70088 1E221140
	s_add_u32 s60, 0x180, s80                                  // 000000004AC0: 803C50FF 00000180
	s_cmp_lt_u32 s60, s81                                      // 000000004AC8: BF0A513C
	s_cselect_b32 s57, s57, 0                                  // 000000004ACC: 85398039
	v_mfma_i32_16x16x32_i8 v[136:139], a[66:67], a[10:11], v[136:139]// 000000004AD0: D3D70088 1E221542
	buffer_load_dwordx4 a[168:171], v48, s[84:87], 0 offen     // 000000004AD8: E05C1000 8095A830
	s_add_u32 s60, 0x100, s80                                  // 000000004AE0: 803C50FF 00000100
	s_cmp_lt_u32 s60, s81                                      // 000000004AE8: BF0A513C
	s_cselect_b32 s58, s58, 0                                  // 000000004AEC: 853A803A
	v_mfma_i32_16x16x32_i8 v[136:139], a[68:69], a[12:13], v[136:139]// 000000004AF0: D3D70088 1E221944
	s_add_u32 s60, 0x100, s80                                  // 000000004AF8: 803C50FF 00000100
	s_cmp_lt_u32 s60, s81                                      // 000000004B00: BF0A513C
	s_cselect_b32 s83, s83, 0                                  // 000000004B04: 85538053
	v_mfma_i32_16x16x32_i8 v[136:139], a[70:71], a[14:15], v[136:139]// 000000004B08: D3D70088 1E221D46
	s_add_u32 s24, s58, s24                                    // 000000004B10: 8018183A
	s_addc_u32 s25, 0, s25                                     // 000000004B14: 82191980
	v_mfma_i32_16x16x32_i8 v[144:147], a[72:73], a[8:9], v[144:147]// 000000004B18: D3D70090 1E421148
	s_add_u32 s20, s57, s20                                    // 000000004B20: 80141439
	s_addc_u32 s21, 0, s21                                     // 000000004B24: 82151580
	v_mfma_i32_16x16x32_i8 v[144:147], a[74:75], a[10:11], v[144:147]// 000000004B28: D3D70090 1E42154A
	buffer_load_dwordx4 a[172:175], v48, s[84:87], 0 offen offset:1024// 000000004B30: E05C1400 8095AC30
	s_add_u32 s84, s83, s84                                    // 000000004B38: 80545453
	s_addc_u32 s85, 0, s85                                     // 000000004B3C: 82555580
	v_mfma_i32_16x16x32_i8 v[144:147], a[76:77], a[12:13], v[144:147]// 000000004B40: D3D70090 1E42194C
	v_mfma_i32_16x16x32_i8 v[144:147], a[78:79], a[14:15], v[144:147]// 000000004B48: D3D70090 1E421D4E
	s_addk_i32 s80, 0x80                                       // 000000004B50: B7500080
	s_cmp_lt_i32 s80, s81                                      // 000000004B54: BF045150
	s_cbranch_scc0 label_08F7                                  // 000000004B58: BF840120
	s_waitcnt vmcnt(16) lgkmcnt(0)                             // 000000004B5C: BF8C4070
	v_mfma_i32_16x16x32_i8 v[52:55], a[80:81], a[16:17], v[52:55]// 000000004B60: D3D70034 1CD22150
	v_mfma_i32_16x16x32_i8 v[52:55], a[82:83], a[18:19], v[52:55]// 000000004B68: D3D70034 1CD22552
	buffer_load_dwordx4 a[32:35], v43, s[24:27], 0 offen       // 000000004B70: E05C1000 8086202B
	v_mfma_i32_16x16x32_i8 v[52:55], a[84:85], a[20:21], v[52:55]// 000000004B78: D3D70034 1CD22954
	v_mfma_i32_16x16x32_i8 v[52:55], a[86:87], a[22:23], v[52:55]// 000000004B80: D3D70034 1CD22D56
	v_mfma_i32_16x16x32_i8 v[60:63], a[88:89], a[16:17], v[60:63]// 000000004B88: D3D7003C 1CF22158
	v_mfma_i32_16x16x32_i8 v[60:63], a[90:91], a[18:19], v[60:63]// 000000004B90: D3D7003C 1CF2255A
	buffer_load_dwordx4 a[36:39], v43, s[24:27], 0 offen offset:1024// 000000004B98: E05C1400 8086242B
	v_mfma_i32_16x16x32_i8 v[60:63], a[92:93], a[20:21], v[60:63]// 000000004BA0: D3D7003C 1CF2295C
	v_mfma_i32_16x16x32_i8 v[60:63], a[94:95], a[22:23], v[60:63]// 000000004BA8: D3D7003C 1CF22D5E
	v_mfma_i32_16x16x32_i8 v[68:71], a[96:97], a[16:17], v[68:71]// 000000004BB0: D3D70044 1D122160
	v_mfma_i32_16x16x32_i8 v[68:71], a[98:99], a[18:19], v[68:71]// 000000004BB8: D3D70044 1D122562
	buffer_load_dwordx4 a[40:43], v44, s[24:27], 0 offen       // 000000004BC0: E05C1000 8086282C
	v_mfma_i32_16x16x32_i8 v[68:71], a[100:101], a[20:21], v[68:71]// 000000004BC8: D3D70044 1D122964
	v_mfma_i32_16x16x32_i8 v[68:71], a[102:103], a[22:23], v[68:71]// 000000004BD0: D3D70044 1D122D66
	v_mfma_i32_16x16x32_i8 v[76:79], a[104:105], a[16:17], v[76:79]// 000000004BD8: D3D7004C 1D322168
	v_mfma_i32_16x16x32_i8 v[76:79], a[106:107], a[18:19], v[76:79]// 000000004BE0: D3D7004C 1D32256A
	buffer_load_dwordx4 a[44:47], v44, s[24:27], 0 offen offset:1024// 000000004BE8: E05C1400 80862C2C
	v_mfma_i32_16x16x32_i8 v[76:79], a[108:109], a[20:21], v[76:79]// 000000004BF0: D3D7004C 1D32296C
	v_mfma_i32_16x16x32_i8 v[76:79], a[110:111], a[22:23], v[76:79]// 000000004BF8: D3D7004C 1D322D6E
	v_mfma_i32_16x16x32_i8 v[84:87], a[112:113], a[16:17], v[84:87]// 000000004C00: D3D70054 1D522170
	v_mfma_i32_16x16x32_i8 v[84:87], a[114:115], a[18:19], v[84:87]// 000000004C08: D3D70054 1D522572
	buffer_load_dwordx4 a[48:51], v45, s[24:27], 0 offen       // 000000004C10: E05C1000 8086302D
	v_mfma_i32_16x16x32_i8 v[84:87], a[116:117], a[20:21], v[84:87]// 000000004C18: D3D70054 1D522974
	v_mfma_i32_16x16x32_i8 v[84:87], a[118:119], a[22:23], v[84:87]// 000000004C20: D3D70054 1D522D76
	v_mfma_i32_16x16x32_i8 v[92:95], a[120:121], a[16:17], v[92:95]// 000000004C28: D3D7005C 1D722178
	v_mfma_i32_16x16x32_i8 v[92:95], a[122:123], a[18:19], v[92:95]// 000000004C30: D3D7005C 1D72257A
	buffer_load_dwordx4 a[52:55], v45, s[24:27], 0 offen offset:1024// 000000004C38: E05C1400 8086342D
	v_mfma_i32_16x16x32_i8 v[92:95], a[124:125], a[20:21], v[92:95]// 000000004C40: D3D7005C 1D72297C
	v_mfma_i32_16x16x32_i8 v[92:95], a[126:127], a[22:23], v[92:95]// 000000004C48: D3D7005C 1D722D7E
	v_mfma_i32_16x16x32_i8 v[56:59], a[80:81], a[24:25], v[56:59]// 000000004C50: D3D70038 1CE23150
	v_mfma_i32_16x16x32_i8 v[56:59], a[82:83], a[26:27], v[56:59]// 000000004C58: D3D70038 1CE23552
	buffer_load_dwordx4 a[56:59], v46, s[24:27], 0 offen       // 000000004C60: E05C1000 8086382E
	v_mfma_i32_16x16x32_i8 v[56:59], a[84:85], a[28:29], v[56:59]// 000000004C68: D3D70038 1CE23954
	v_mfma_i32_16x16x32_i8 v[56:59], a[86:87], a[30:31], v[56:59]// 000000004C70: D3D70038 1CE23D56
	v_mfma_i32_16x16x32_i8 v[64:67], a[88:89], a[24:25], v[64:67]// 000000004C78: D3D70040 1D023158
	v_mfma_i32_16x16x32_i8 v[64:67], a[90:91], a[26:27], v[64:67]// 000000004C80: D3D70040 1D02355A
	buffer_load_dwordx4 a[60:63], v46, s[24:27], 0 offen offset:1024// 000000004C88: E05C1400 80863C2E
	v_mfma_i32_16x16x32_i8 v[64:67], a[92:93], a[28:29], v[64:67]// 000000004C90: D3D70040 1D02395C
	v_mfma_i32_16x16x32_i8 v[64:67], a[94:95], a[30:31], v[64:67]// 000000004C98: D3D70040 1D023D5E
	v_mfma_i32_16x16x32_i8 v[72:75], a[96:97], a[24:25], v[72:75]// 000000004CA0: D3D70048 1D223160
	v_mfma_i32_16x16x32_i8 v[72:75], a[98:99], a[26:27], v[72:75]// 000000004CA8: D3D70048 1D223562
	buffer_load_dwordx4 a[64:67], v47, s[24:27], 0 offen       // 000000004CB0: E05C1000 8086402F
	v_mfma_i32_16x16x32_i8 v[72:75], a[100:101], a[28:29], v[72:75]// 000000004CB8: D3D70048 1D223964
	v_mfma_i32_16x16x32_i8 v[72:75], a[102:103], a[30:31], v[72:75]// 000000004CC0: D3D70048 1D223D66
	v_mfma_i32_16x16x32_i8 v[80:83], a[104:105], a[24:25], v[80:83]// 000000004CC8: D3D70050 1D423168
	v_mfma_i32_16x16x32_i8 v[80:83], a[106:107], a[26:27], v[80:83]// 000000004CD0: D3D70050 1D42356A
	buffer_load_dwordx4 a[68:71], v47, s[24:27], 0 offen offset:1024// 000000004CD8: E05C1400 8086442F
	v_mfma_i32_16x16x32_i8 v[80:83], a[108:109], a[28:29], v[80:83]// 000000004CE0: D3D70050 1D42396C
	v_mfma_i32_16x16x32_i8 v[80:83], a[110:111], a[30:31], v[80:83]// 000000004CE8: D3D70050 1D423D6E
	v_mfma_i32_16x16x32_i8 v[88:91], a[112:113], a[24:25], v[88:91]// 000000004CF0: D3D70058 1D623170
	v_mfma_i32_16x16x32_i8 v[88:91], a[114:115], a[26:27], v[88:91]// 000000004CF8: D3D70058 1D623572
	buffer_load_dwordx4 a[72:75], v48, s[24:27], 0 offen       // 000000004D00: E05C1000 80864830
	v_mfma_i32_16x16x32_i8 v[88:91], a[116:117], a[28:29], v[88:91]// 000000004D08: D3D70058 1D623974
	v_mfma_i32_16x16x32_i8 v[88:91], a[118:119], a[30:31], v[88:91]// 000000004D10: D3D70058 1D623D76
	v_mfma_i32_16x16x32_i8 v[96:99], a[120:121], a[24:25], v[96:99]// 000000004D18: D3D70060 1D823178
	v_mfma_i32_16x16x32_i8 v[96:99], a[122:123], a[26:27], v[96:99]// 000000004D20: D3D70060 1D82357A
	buffer_load_dwordx4 a[76:79], v48, s[24:27], 0 offen offset:1024// 000000004D28: E05C1400 80864C30
	buffer_load_dword v39, s[20:23], 0 offen lds               // 000000004D30: E0511000 80050027
	s_add_u32 m0, 0x100, s49                                   // 000000004D38: 807C31FF 00000100
	v_mfma_i32_16x16x32_i8 v[96:99], a[124:125], a[28:29], v[96:99]// 000000004D40: D3D70060 1D82397C
	v_mfma_i32_16x16x32_i8 v[96:99], a[126:127], a[30:31], v[96:99]// 000000004D48: D3D70060 1D823D7E
	buffer_load_dword v40, s[20:23], 0 offen lds               // 000000004D50: E0511000 80050028
	s_add_u32 m0, 0x200, s49                                   // 000000004D58: 807C31FF 00000200
	buffer_load_dword v41, s[20:23], 0 offen lds               // 000000004D60: E0511000 80050029
	s_add_u32 m0, 0x300, s49                                   // 000000004D68: 807C31FF 00000300
	buffer_load_dword v42, s[20:23], 0 offen lds               // 000000004D70: E0511000 8005002A
	s_add_u32 m0, 0, s50                                       // 000000004D78: 807C3280
	s_waitcnt vmcnt(16)                                        // 000000004D7C: BF8C4F70
	s_barrier                                                  // 000000004D80: BF8A0000
	v_mfma_i32_16x16x32_i8 v[100:103], a[128:129], a[16:17], v[100:103]// 000000004D84: D3D70064 1D922180
	v_mfma_i32_16x16x32_i8 v[100:103], a[130:131], a[18:19], v[100:103]// 000000004D8C: D3D70064 1D922582
	buffer_load_dwordx4 a[80:83], v43, s[84:87], 0 offen       // 000000004D94: E05C1000 8095502B
	v_mfma_i32_16x16x32_i8 v[100:103], a[132:133], a[20:21], v[100:103]// 000000004D9C: D3D70064 1D922984
	v_mfma_i32_16x16x32_i8 v[100:103], a[134:135], a[22:23], v[100:103]// 000000004DA4: D3D70064 1D922D86
	ds_read_b128 a[0:3], v2                                    // 000000004DAC: DBFE0000 00000002
	ds_read_b128 a[4:7], v2 offset:64                          // 000000004DB4: DBFE0040 04000002
	v_mfma_i32_16x16x32_i8 v[108:111], a[136:137], a[16:17], v[108:111]// 000000004DBC: D3D7006C 1DB22188
	v_mfma_i32_16x16x32_i8 v[108:111], a[138:139], a[18:19], v[108:111]// 000000004DC4: D3D7006C 1DB2258A
	buffer_load_dwordx4 a[84:87], v43, s[84:87], 0 offen offset:1024// 000000004DCC: E05C1400 8095542B
	v_mfma_i32_16x16x32_i8 v[108:111], a[140:141], a[20:21], v[108:111]// 000000004DD4: D3D7006C 1DB2298C
	v_mfma_i32_16x16x32_i8 v[108:111], a[142:143], a[22:23], v[108:111]// 000000004DDC: D3D7006C 1DB22D8E
	ds_read_b128 a[8:11], v2 offset:512                        // 000000004DE4: DBFE0200 08000002
	ds_read_b128 a[12:15], v2 offset:576                       // 000000004DEC: DBFE0240 0C000002
	v_mfma_i32_16x16x32_i8 v[116:119], a[144:145], a[16:17], v[116:119]// 000000004DF4: D3D70074 1DD22190
	v_mfma_i32_16x16x32_i8 v[116:119], a[146:147], a[18:19], v[116:119]// 000000004DFC: D3D70074 1DD22592
	buffer_load_dwordx4 a[88:91], v44, s[84:87], 0 offen       // 000000004E04: E05C1000 8095582C
	v_mfma_i32_16x16x32_i8 v[116:119], a[148:149], a[20:21], v[116:119]// 000000004E0C: D3D70074 1DD22994
	v_mfma_i32_16x16x32_i8 v[116:119], a[150:151], a[22:23], v[116:119]// 000000004E14: D3D70074 1DD22D96
	v_mfma_i32_16x16x32_i8 v[124:127], a[152:153], a[16:17], v[124:127]// 000000004E1C: D3D7007C 1DF22198
	v_mfma_i32_16x16x32_i8 v[124:127], a[154:155], a[18:19], v[124:127]// 000000004E24: D3D7007C 1DF2259A
	buffer_load_dwordx4 a[92:95], v44, s[84:87], 0 offen offset:1024// 000000004E2C: E05C1400 80955C2C
	v_mfma_i32_16x16x32_i8 v[124:127], a[156:157], a[20:21], v[124:127]// 000000004E34: D3D7007C 1DF2299C
	v_mfma_i32_16x16x32_i8 v[124:127], a[158:159], a[22:23], v[124:127]// 000000004E3C: D3D7007C 1DF22D9E
	v_mfma_i32_16x16x32_i8 v[132:135], a[160:161], a[16:17], v[132:135]// 000000004E44: D3D70084 1E1221A0
	v_mfma_i32_16x16x32_i8 v[132:135], a[162:163], a[18:19], v[132:135]// 000000004E4C: D3D70084 1E1225A2
	buffer_load_dwordx4 a[96:99], v45, s[84:87], 0 offen       // 000000004E54: E05C1000 8095602D
	v_mfma_i32_16x16x32_i8 v[132:135], a[164:165], a[20:21], v[132:135]// 000000004E5C: D3D70084 1E1229A4
	v_mfma_i32_16x16x32_i8 v[132:135], a[166:167], a[22:23], v[132:135]// 000000004E64: D3D70084 1E122DA6
	v_mfma_i32_16x16x32_i8 v[140:143], a[168:169], a[16:17], v[140:143]// 000000004E6C: D3D7008C 1E3221A8
	v_mfma_i32_16x16x32_i8 v[140:143], a[170:171], a[18:19], v[140:143]// 000000004E74: D3D7008C 1E3225AA
	buffer_load_dwordx4 a[100:103], v45, s[84:87], 0 offen offset:1024// 000000004E7C: E05C1400 8095642D
	v_mfma_i32_16x16x32_i8 v[140:143], a[172:173], a[20:21], v[140:143]// 000000004E84: D3D7008C 1E3229AC
	v_mfma_i32_16x16x32_i8 v[140:143], a[174:175], a[22:23], v[140:143]// 000000004E8C: D3D7008C 1E322DAE
	v_mfma_i32_16x16x32_i8 v[104:107], a[128:129], a[24:25], v[104:107]// 000000004E94: D3D70068 1DA23180
	v_mfma_i32_16x16x32_i8 v[104:107], a[130:131], a[26:27], v[104:107]// 000000004E9C: D3D70068 1DA23582
	buffer_load_dwordx4 a[104:107], v46, s[84:87], 0 offen     // 000000004EA4: E05C1000 8095682E
	v_mfma_i32_16x16x32_i8 v[104:107], a[132:133], a[28:29], v[104:107]// 000000004EAC: D3D70068 1DA23984
	v_mfma_i32_16x16x32_i8 v[104:107], a[134:135], a[30:31], v[104:107]// 000000004EB4: D3D70068 1DA23D86
	v_mfma_i32_16x16x32_i8 v[112:115], a[136:137], a[24:25], v[112:115]// 000000004EBC: D3D70070 1DC23188
	v_mfma_i32_16x16x32_i8 v[112:115], a[138:139], a[26:27], v[112:115]// 000000004EC4: D3D70070 1DC2358A
	buffer_load_dwordx4 a[108:111], v46, s[84:87], 0 offen offset:1024// 000000004ECC: E05C1400 80956C2E
	v_mfma_i32_16x16x32_i8 v[112:115], a[140:141], a[28:29], v[112:115]// 000000004ED4: D3D70070 1DC2398C
	v_mfma_i32_16x16x32_i8 v[112:115], a[142:143], a[30:31], v[112:115]// 000000004EDC: D3D70070 1DC23D8E
	v_mfma_i32_16x16x32_i8 v[120:123], a[144:145], a[24:25], v[120:123]// 000000004EE4: D3D70078 1DE23190
	v_mfma_i32_16x16x32_i8 v[120:123], a[146:147], a[26:27], v[120:123]// 000000004EEC: D3D70078 1DE23592
	buffer_load_dwordx4 a[112:115], v47, s[84:87], 0 offen     // 000000004EF4: E05C1000 8095702F
	v_mfma_i32_16x16x32_i8 v[120:123], a[148:149], a[28:29], v[120:123]// 000000004EFC: D3D70078 1DE23994
	v_mfma_i32_16x16x32_i8 v[120:123], a[150:151], a[30:31], v[120:123]// 000000004F04: D3D70078 1DE23D96
	v_mfma_i32_16x16x32_i8 v[128:131], a[152:153], a[24:25], v[128:131]// 000000004F0C: D3D70080 1E023198
	v_mfma_i32_16x16x32_i8 v[128:131], a[154:155], a[26:27], v[128:131]// 000000004F14: D3D70080 1E02359A
	buffer_load_dwordx4 a[116:119], v47, s[84:87], 0 offen offset:1024// 000000004F1C: E05C1400 8095742F
	v_mfma_i32_16x16x32_i8 v[128:131], a[156:157], a[28:29], v[128:131]// 000000004F24: D3D70080 1E02399C
	v_mfma_i32_16x16x32_i8 v[128:131], a[158:159], a[30:31], v[128:131]// 000000004F2C: D3D70080 1E023D9E
	v_mfma_i32_16x16x32_i8 v[136:139], a[160:161], a[24:25], v[136:139]// 000000004F34: D3D70088 1E2231A0
	s_add_u32 s60, 0x180, s80                                  // 000000004F3C: 803C50FF 00000180
	s_cmp_lt_u32 s60, s81                                      // 000000004F44: BF0A513C
	s_cselect_b32 s57, s57, 0                                  // 000000004F48: 85398039
	v_mfma_i32_16x16x32_i8 v[136:139], a[162:163], a[26:27], v[136:139]// 000000004F4C: D3D70088 1E2235A2
	buffer_load_dwordx4 a[120:123], v48, s[84:87], 0 offen     // 000000004F54: E05C1000 80957830
	s_add_u32 s60, 0x100, s80                                  // 000000004F5C: 803C50FF 00000100
	s_cmp_lt_u32 s60, s81                                      // 000000004F64: BF0A513C
	s_cselect_b32 s58, s58, 0                                  // 000000004F68: 853A803A
	v_mfma_i32_16x16x32_i8 v[136:139], a[164:165], a[28:29], v[136:139]// 000000004F6C: D3D70088 1E2239A4
	s_add_u32 s60, 0x100, s80                                  // 000000004F74: 803C50FF 00000100
	s_cmp_lt_u32 s60, s81                                      // 000000004F7C: BF0A513C
	s_cselect_b32 s83, s83, 0                                  // 000000004F80: 85538053
	v_mfma_i32_16x16x32_i8 v[136:139], a[166:167], a[30:31], v[136:139]// 000000004F84: D3D70088 1E223DA6
	s_add_u32 s24, s58, s24                                    // 000000004F8C: 8018183A
	s_addc_u32 s25, 0, s25                                     // 000000004F90: 82191980
	v_mfma_i32_16x16x32_i8 v[144:147], a[168:169], a[24:25], v[144:147]// 000000004F94: D3D70090 1E4231A8
	s_add_u32 s20, s57, s20                                    // 000000004F9C: 80141439
	s_addc_u32 s21, 0, s21                                     // 000000004FA0: 82151580
	v_mfma_i32_16x16x32_i8 v[144:147], a[170:171], a[26:27], v[144:147]// 000000004FA4: D3D70090 1E4235AA
	buffer_load_dwordx4 a[124:127], v48, s[84:87], 0 offen offset:1024// 000000004FAC: E05C1400 80957C30
	s_add_u32 s84, s83, s84                                    // 000000004FB4: 80545453
	s_addc_u32 s85, 0, s85                                     // 000000004FB8: 82555580
	v_mfma_i32_16x16x32_i8 v[144:147], a[172:173], a[28:29], v[144:147]// 000000004FBC: D3D70090 1E4239AC
	v_mfma_i32_16x16x32_i8 v[144:147], a[174:175], a[30:31], v[144:147]// 000000004FC4: D3D70090 1E423DAE
	s_addk_i32 s80, 0x80                                       // 000000004FCC: B7500080
	s_cmp_lt_i32 s80, s81                                      // 000000004FD0: BF045150
	s_cbranch_scc0 label_08F7                                  // 000000004FD4: BF840001
	s_branch label_023C                                        // 000000004FD8: BF82F945

0000000000004fdc <label_08F7>:
	v_cvt_f32_i32_e32 v52, v52                                 // 000000004FDC: 7E680B34
	v_cvt_f32_i32_e32 v53, v53                                 // 000000004FE0: 7E6A0B35
	v_cvt_f32_i32_e32 v54, v54                                 // 000000004FE4: 7E6C0B36
	v_cvt_f32_i32_e32 v55, v55                                 // 000000004FE8: 7E6E0B37
	v_mul_f32_dpp v52, v25, v52 row_newbcast:0 row_mask:0xf bank_mask:0xf// 000000004FEC: 0A6868FA FF015019
	v_mul_f32_dpp v53, v25, v53 row_newbcast:1 row_mask:0xf bank_mask:0xf// 000000004FF4: 0A6A6AFA FF015119
	v_mul_f32_dpp v54, v25, v54 row_newbcast:2 row_mask:0xf bank_mask:0xf// 000000004FFC: 0A6C6CFA FF015219
	v_mul_f32_dpp v55, v25, v55 row_newbcast:3 row_mask:0xf bank_mask:0xf// 000000005004: 0A6E6EFA FF015319
	v_cvt_f32_i32_e32 v56, v56                                 // 00000000500C: 7E700B38
	v_cvt_f32_i32_e32 v57, v57                                 // 000000005010: 7E720B39
	v_cvt_f32_i32_e32 v58, v58                                 // 000000005014: 7E740B3A
	v_cvt_f32_i32_e32 v59, v59                                 // 000000005018: 7E760B3B
	v_mul_f32_dpp v56, v25, v56 row_newbcast:0 row_mask:0xf bank_mask:0xf// 00000000501C: 0A7070FA FF015019
	v_mul_f32_dpp v57, v25, v57 row_newbcast:1 row_mask:0xf bank_mask:0xf// 000000005024: 0A7272FA FF015119
	v_mul_f32_dpp v58, v25, v58 row_newbcast:2 row_mask:0xf bank_mask:0xf// 00000000502C: 0A7474FA FF015219
	v_mul_f32_dpp v59, v25, v59 row_newbcast:3 row_mask:0xf bank_mask:0xf// 000000005034: 0A7676FA FF015319
	v_cvt_f32_i32_e32 v60, v60                                 // 00000000503C: 7E780B3C
	v_cvt_f32_i32_e32 v61, v61                                 // 000000005040: 7E7A0B3D
	v_cvt_f32_i32_e32 v62, v62                                 // 000000005044: 7E7C0B3E
	v_cvt_f32_i32_e32 v63, v63                                 // 000000005048: 7E7E0B3F
	v_mul_f32_dpp v60, v25, v60 row_newbcast:4 row_mask:0xf bank_mask:0xf// 00000000504C: 0A7878FA FF015419
	v_mul_f32_dpp v61, v25, v61 row_newbcast:5 row_mask:0xf bank_mask:0xf// 000000005054: 0A7A7AFA FF015519
	v_mul_f32_dpp v62, v25, v62 row_newbcast:6 row_mask:0xf bank_mask:0xf// 00000000505C: 0A7C7CFA FF015619
	v_mul_f32_dpp v63, v25, v63 row_newbcast:7 row_mask:0xf bank_mask:0xf// 000000005064: 0A7E7EFA FF015719
	v_cvt_f32_i32_e32 v64, v64                                 // 00000000506C: 7E800B40
	v_cvt_f32_i32_e32 v65, v65                                 // 000000005070: 7E820B41
	v_cvt_f32_i32_e32 v66, v66                                 // 000000005074: 7E840B42
	v_cvt_f32_i32_e32 v67, v67                                 // 000000005078: 7E860B43
	v_mul_f32_dpp v64, v25, v64 row_newbcast:4 row_mask:0xf bank_mask:0xf// 00000000507C: 0A8080FA FF015419
	v_mul_f32_dpp v65, v25, v65 row_newbcast:5 row_mask:0xf bank_mask:0xf// 000000005084: 0A8282FA FF015519
	v_mul_f32_dpp v66, v25, v66 row_newbcast:6 row_mask:0xf bank_mask:0xf// 00000000508C: 0A8484FA FF015619
	v_mul_f32_dpp v67, v25, v67 row_newbcast:7 row_mask:0xf bank_mask:0xf// 000000005094: 0A8686FA FF015719
	v_cvt_f32_i32_e32 v68, v68                                 // 00000000509C: 7E880B44
	v_cvt_f32_i32_e32 v69, v69                                 // 0000000050A0: 7E8A0B45
	v_cvt_f32_i32_e32 v70, v70                                 // 0000000050A4: 7E8C0B46
	v_cvt_f32_i32_e32 v71, v71                                 // 0000000050A8: 7E8E0B47
	v_mul_f32_dpp v68, v25, v68 row_newbcast:8 row_mask:0xf bank_mask:0xf// 0000000050AC: 0A8888FA FF015819
	v_mul_f32_dpp v69, v25, v69 row_newbcast:9 row_mask:0xf bank_mask:0xf// 0000000050B4: 0A8A8AFA FF015919
	v_mul_f32_dpp v70, v25, v70 row_newbcast:10 row_mask:0xf bank_mask:0xf// 0000000050BC: 0A8C8CFA FF015A19
	v_mul_f32_dpp v71, v25, v71 row_newbcast:11 row_mask:0xf bank_mask:0xf// 0000000050C4: 0A8E8EFA FF015B19
	v_cvt_f32_i32_e32 v72, v72                                 // 0000000050CC: 7E900B48
	v_cvt_f32_i32_e32 v73, v73                                 // 0000000050D0: 7E920B49
	v_cvt_f32_i32_e32 v74, v74                                 // 0000000050D4: 7E940B4A
	v_cvt_f32_i32_e32 v75, v75                                 // 0000000050D8: 7E960B4B
	v_mul_f32_dpp v72, v25, v72 row_newbcast:8 row_mask:0xf bank_mask:0xf// 0000000050DC: 0A9090FA FF015819
	v_mul_f32_dpp v73, v25, v73 row_newbcast:9 row_mask:0xf bank_mask:0xf// 0000000050E4: 0A9292FA FF015919
	v_mul_f32_dpp v74, v25, v74 row_newbcast:10 row_mask:0xf bank_mask:0xf// 0000000050EC: 0A9494FA FF015A19
	v_mul_f32_dpp v75, v25, v75 row_newbcast:11 row_mask:0xf bank_mask:0xf// 0000000050F4: 0A9696FA FF015B19
	v_cvt_f32_i32_e32 v76, v76                                 // 0000000050FC: 7E980B4C
	v_cvt_f32_i32_e32 v77, v77                                 // 000000005100: 7E9A0B4D
	v_cvt_f32_i32_e32 v78, v78                                 // 000000005104: 7E9C0B4E
	v_cvt_f32_i32_e32 v79, v79                                 // 000000005108: 7E9E0B4F
	v_mul_f32_dpp v76, v25, v76 row_newbcast:12 row_mask:0xf bank_mask:0xf// 00000000510C: 0A9898FA FF015C19
	v_mul_f32_dpp v77, v25, v77 row_newbcast:13 row_mask:0xf bank_mask:0xf// 000000005114: 0A9A9AFA FF015D19
	v_mul_f32_dpp v78, v25, v78 row_newbcast:14 row_mask:0xf bank_mask:0xf// 00000000511C: 0A9C9CFA FF015E19
	v_mul_f32_dpp v79, v25, v79 row_newbcast:15 row_mask:0xf bank_mask:0xf// 000000005124: 0A9E9EFA FF015F19
	v_cvt_f32_i32_e32 v80, v80                                 // 00000000512C: 7EA00B50
	v_cvt_f32_i32_e32 v81, v81                                 // 000000005130: 7EA20B51
	v_cvt_f32_i32_e32 v82, v82                                 // 000000005134: 7EA40B52
	v_cvt_f32_i32_e32 v83, v83                                 // 000000005138: 7EA60B53
	v_mul_f32_dpp v80, v25, v80 row_newbcast:12 row_mask:0xf bank_mask:0xf// 00000000513C: 0AA0A0FA FF015C19
	v_mul_f32_dpp v81, v25, v81 row_newbcast:13 row_mask:0xf bank_mask:0xf// 000000005144: 0AA2A2FA FF015D19
	v_mul_f32_dpp v82, v25, v82 row_newbcast:14 row_mask:0xf bank_mask:0xf// 00000000514C: 0AA4A4FA FF015E19
	v_mul_f32_dpp v83, v25, v83 row_newbcast:15 row_mask:0xf bank_mask:0xf// 000000005154: 0AA6A6FA FF015F19
	v_cvt_f32_i32_e32 v84, v84                                 // 00000000515C: 7EA80B54
	v_cvt_f32_i32_e32 v85, v85                                 // 000000005160: 7EAA0B55
	v_cvt_f32_i32_e32 v86, v86                                 // 000000005164: 7EAC0B56
	v_cvt_f32_i32_e32 v87, v87                                 // 000000005168: 7EAE0B57
	v_mul_f32_dpp v84, v26, v84 row_newbcast:0 row_mask:0xf bank_mask:0xf// 00000000516C: 0AA8A8FA FF01501A
	v_mul_f32_dpp v85, v26, v85 row_newbcast:1 row_mask:0xf bank_mask:0xf// 000000005174: 0AAAAAFA FF01511A
	v_mul_f32_dpp v86, v26, v86 row_newbcast:2 row_mask:0xf bank_mask:0xf// 00000000517C: 0AACACFA FF01521A
	v_mul_f32_dpp v87, v26, v87 row_newbcast:3 row_mask:0xf bank_mask:0xf// 000000005184: 0AAEAEFA FF01531A
	v_cvt_f32_i32_e32 v88, v88                                 // 00000000518C: 7EB00B58
	v_cvt_f32_i32_e32 v89, v89                                 // 000000005190: 7EB20B59
	v_cvt_f32_i32_e32 v90, v90                                 // 000000005194: 7EB40B5A
	v_cvt_f32_i32_e32 v91, v91                                 // 000000005198: 7EB60B5B
	v_mul_f32_dpp v88, v26, v88 row_newbcast:0 row_mask:0xf bank_mask:0xf// 00000000519C: 0AB0B0FA FF01501A
	v_mul_f32_dpp v89, v26, v89 row_newbcast:1 row_mask:0xf bank_mask:0xf// 0000000051A4: 0AB2B2FA FF01511A
	v_mul_f32_dpp v90, v26, v90 row_newbcast:2 row_mask:0xf bank_mask:0xf// 0000000051AC: 0AB4B4FA FF01521A
	v_mul_f32_dpp v91, v26, v91 row_newbcast:3 row_mask:0xf bank_mask:0xf// 0000000051B4: 0AB6B6FA FF01531A
	v_cvt_f32_i32_e32 v92, v92                                 // 0000000051BC: 7EB80B5C
	v_cvt_f32_i32_e32 v93, v93                                 // 0000000051C0: 7EBA0B5D
	v_cvt_f32_i32_e32 v94, v94                                 // 0000000051C4: 7EBC0B5E
	v_cvt_f32_i32_e32 v95, v95                                 // 0000000051C8: 7EBE0B5F
	v_mul_f32_dpp v92, v26, v92 row_newbcast:4 row_mask:0xf bank_mask:0xf// 0000000051CC: 0AB8B8FA FF01541A
	v_mul_f32_dpp v93, v26, v93 row_newbcast:5 row_mask:0xf bank_mask:0xf// 0000000051D4: 0ABABAFA FF01551A
	v_mul_f32_dpp v94, v26, v94 row_newbcast:6 row_mask:0xf bank_mask:0xf// 0000000051DC: 0ABCBCFA FF01561A
	v_mul_f32_dpp v95, v26, v95 row_newbcast:7 row_mask:0xf bank_mask:0xf// 0000000051E4: 0ABEBEFA FF01571A
	v_cvt_f32_i32_e32 v96, v96                                 // 0000000051EC: 7EC00B60
	v_cvt_f32_i32_e32 v97, v97                                 // 0000000051F0: 7EC20B61
	v_cvt_f32_i32_e32 v98, v98                                 // 0000000051F4: 7EC40B62
	v_cvt_f32_i32_e32 v99, v99                                 // 0000000051F8: 7EC60B63
	v_mul_f32_dpp v96, v26, v96 row_newbcast:4 row_mask:0xf bank_mask:0xf// 0000000051FC: 0AC0C0FA FF01541A
	v_mul_f32_dpp v97, v26, v97 row_newbcast:5 row_mask:0xf bank_mask:0xf// 000000005204: 0AC2C2FA FF01551A
	v_mul_f32_dpp v98, v26, v98 row_newbcast:6 row_mask:0xf bank_mask:0xf// 00000000520C: 0AC4C4FA FF01561A
	v_mul_f32_dpp v99, v26, v99 row_newbcast:7 row_mask:0xf bank_mask:0xf// 000000005214: 0AC6C6FA FF01571A
	v_cvt_f32_i32_e32 v100, v100                               // 00000000521C: 7EC80B64
	v_cvt_f32_i32_e32 v101, v101                               // 000000005220: 7ECA0B65
	v_cvt_f32_i32_e32 v102, v102                               // 000000005224: 7ECC0B66
	v_cvt_f32_i32_e32 v103, v103                               // 000000005228: 7ECE0B67
	v_mul_f32_dpp v100, v28, v100 row_newbcast:0 row_mask:0xf bank_mask:0xf// 00000000522C: 0AC8C8FA FF01501C
	v_mul_f32_dpp v101, v28, v101 row_newbcast:1 row_mask:0xf bank_mask:0xf// 000000005234: 0ACACAFA FF01511C
	v_mul_f32_dpp v102, v28, v102 row_newbcast:2 row_mask:0xf bank_mask:0xf// 00000000523C: 0ACCCCFA FF01521C
	v_mul_f32_dpp v103, v28, v103 row_newbcast:3 row_mask:0xf bank_mask:0xf// 000000005244: 0ACECEFA FF01531C
	v_cvt_f32_i32_e32 v104, v104                               // 00000000524C: 7ED00B68
	v_cvt_f32_i32_e32 v105, v105                               // 000000005250: 7ED20B69
	v_cvt_f32_i32_e32 v106, v106                               // 000000005254: 7ED40B6A
	v_cvt_f32_i32_e32 v107, v107                               // 000000005258: 7ED60B6B
	v_mul_f32_dpp v104, v28, v104 row_newbcast:0 row_mask:0xf bank_mask:0xf// 00000000525C: 0AD0D0FA FF01501C
	v_mul_f32_dpp v105, v28, v105 row_newbcast:1 row_mask:0xf bank_mask:0xf// 000000005264: 0AD2D2FA FF01511C
	v_mul_f32_dpp v106, v28, v106 row_newbcast:2 row_mask:0xf bank_mask:0xf// 00000000526C: 0AD4D4FA FF01521C
	v_mul_f32_dpp v107, v28, v107 row_newbcast:3 row_mask:0xf bank_mask:0xf// 000000005274: 0AD6D6FA FF01531C
	v_cvt_f32_i32_e32 v108, v108                               // 00000000527C: 7ED80B6C
	v_cvt_f32_i32_e32 v109, v109                               // 000000005280: 7EDA0B6D
	v_cvt_f32_i32_e32 v110, v110                               // 000000005284: 7EDC0B6E
	v_cvt_f32_i32_e32 v111, v111                               // 000000005288: 7EDE0B6F
	v_mul_f32_dpp v108, v28, v108 row_newbcast:4 row_mask:0xf bank_mask:0xf// 00000000528C: 0AD8D8FA FF01541C
	v_mul_f32_dpp v109, v28, v109 row_newbcast:5 row_mask:0xf bank_mask:0xf// 000000005294: 0ADADAFA FF01551C
	v_mul_f32_dpp v110, v28, v110 row_newbcast:6 row_mask:0xf bank_mask:0xf// 00000000529C: 0ADCDCFA FF01561C
	v_mul_f32_dpp v111, v28, v111 row_newbcast:7 row_mask:0xf bank_mask:0xf// 0000000052A4: 0ADEDEFA FF01571C
	v_cvt_f32_i32_e32 v112, v112                               // 0000000052AC: 7EE00B70
	v_cvt_f32_i32_e32 v113, v113                               // 0000000052B0: 7EE20B71
	v_cvt_f32_i32_e32 v114, v114                               // 0000000052B4: 7EE40B72
	v_cvt_f32_i32_e32 v115, v115                               // 0000000052B8: 7EE60B73
	v_mul_f32_dpp v112, v28, v112 row_newbcast:4 row_mask:0xf bank_mask:0xf// 0000000052BC: 0AE0E0FA FF01541C
	v_mul_f32_dpp v113, v28, v113 row_newbcast:5 row_mask:0xf bank_mask:0xf// 0000000052C4: 0AE2E2FA FF01551C
	v_mul_f32_dpp v114, v28, v114 row_newbcast:6 row_mask:0xf bank_mask:0xf// 0000000052CC: 0AE4E4FA FF01561C
	v_mul_f32_dpp v115, v28, v115 row_newbcast:7 row_mask:0xf bank_mask:0xf// 0000000052D4: 0AE6E6FA FF01571C
	v_cvt_f32_i32_e32 v116, v116                               // 0000000052DC: 7EE80B74
	v_cvt_f32_i32_e32 v117, v117                               // 0000000052E0: 7EEA0B75
	v_cvt_f32_i32_e32 v118, v118                               // 0000000052E4: 7EEC0B76
	v_cvt_f32_i32_e32 v119, v119                               // 0000000052E8: 7EEE0B77
	v_mul_f32_dpp v116, v28, v116 row_newbcast:8 row_mask:0xf bank_mask:0xf// 0000000052EC: 0AE8E8FA FF01581C
	v_mul_f32_dpp v117, v28, v117 row_newbcast:9 row_mask:0xf bank_mask:0xf// 0000000052F4: 0AEAEAFA FF01591C
	v_mul_f32_dpp v118, v28, v118 row_newbcast:10 row_mask:0xf bank_mask:0xf// 0000000052FC: 0AECECFA FF015A1C
	v_mul_f32_dpp v119, v28, v119 row_newbcast:11 row_mask:0xf bank_mask:0xf// 000000005304: 0AEEEEFA FF015B1C
	v_cvt_f32_i32_e32 v120, v120                               // 00000000530C: 7EF00B78
	v_cvt_f32_i32_e32 v121, v121                               // 000000005310: 7EF20B79
	v_cvt_f32_i32_e32 v122, v122                               // 000000005314: 7EF40B7A
	v_cvt_f32_i32_e32 v123, v123                               // 000000005318: 7EF60B7B
	v_mul_f32_dpp v120, v28, v120 row_newbcast:8 row_mask:0xf bank_mask:0xf// 00000000531C: 0AF0F0FA FF01581C
	v_mul_f32_dpp v121, v28, v121 row_newbcast:9 row_mask:0xf bank_mask:0xf// 000000005324: 0AF2F2FA FF01591C
	v_mul_f32_dpp v122, v28, v122 row_newbcast:10 row_mask:0xf bank_mask:0xf// 00000000532C: 0AF4F4FA FF015A1C
	v_mul_f32_dpp v123, v28, v123 row_newbcast:11 row_mask:0xf bank_mask:0xf// 000000005334: 0AF6F6FA FF015B1C
	v_cvt_f32_i32_e32 v124, v124                               // 00000000533C: 7EF80B7C
	v_cvt_f32_i32_e32 v125, v125                               // 000000005340: 7EFA0B7D
	v_cvt_f32_i32_e32 v126, v126                               // 000000005344: 7EFC0B7E
	v_cvt_f32_i32_e32 v127, v127                               // 000000005348: 7EFE0B7F
	v_mul_f32_dpp v124, v28, v124 row_newbcast:12 row_mask:0xf bank_mask:0xf// 00000000534C: 0AF8F8FA FF015C1C
	v_mul_f32_dpp v125, v28, v125 row_newbcast:13 row_mask:0xf bank_mask:0xf// 000000005354: 0AFAFAFA FF015D1C
	v_mul_f32_dpp v126, v28, v126 row_newbcast:14 row_mask:0xf bank_mask:0xf// 00000000535C: 0AFCFCFA FF015E1C
	v_mul_f32_dpp v127, v28, v127 row_newbcast:15 row_mask:0xf bank_mask:0xf// 000000005364: 0AFEFEFA FF015F1C
	v_cvt_f32_i32_e32 v128, v128                               // 00000000536C: 7F000B80
	v_cvt_f32_i32_e32 v129, v129                               // 000000005370: 7F020B81
	v_cvt_f32_i32_e32 v130, v130                               // 000000005374: 7F040B82
	v_cvt_f32_i32_e32 v131, v131                               // 000000005378: 7F060B83
	v_mul_f32_dpp v128, v28, v128 row_newbcast:12 row_mask:0xf bank_mask:0xf// 00000000537C: 0B0100FA FF015C1C
	v_mul_f32_dpp v129, v28, v129 row_newbcast:13 row_mask:0xf bank_mask:0xf// 000000005384: 0B0302FA FF015D1C
	v_mul_f32_dpp v130, v28, v130 row_newbcast:14 row_mask:0xf bank_mask:0xf// 00000000538C: 0B0504FA FF015E1C
	v_mul_f32_dpp v131, v28, v131 row_newbcast:15 row_mask:0xf bank_mask:0xf// 000000005394: 0B0706FA FF015F1C
	v_cvt_f32_i32_e32 v132, v132                               // 00000000539C: 7F080B84
	v_cvt_f32_i32_e32 v133, v133                               // 0000000053A0: 7F0A0B85
	v_cvt_f32_i32_e32 v134, v134                               // 0000000053A4: 7F0C0B86
	v_cvt_f32_i32_e32 v135, v135                               // 0000000053A8: 7F0E0B87
	v_mul_f32_dpp v132, v29, v132 row_newbcast:0 row_mask:0xf bank_mask:0xf// 0000000053AC: 0B0908FA FF01501D
	v_mul_f32_dpp v133, v29, v133 row_newbcast:1 row_mask:0xf bank_mask:0xf// 0000000053B4: 0B0B0AFA FF01511D
	v_mul_f32_dpp v134, v29, v134 row_newbcast:2 row_mask:0xf bank_mask:0xf// 0000000053BC: 0B0D0CFA FF01521D
	v_mul_f32_dpp v135, v29, v135 row_newbcast:3 row_mask:0xf bank_mask:0xf// 0000000053C4: 0B0F0EFA FF01531D
	v_cvt_f32_i32_e32 v136, v136                               // 0000000053CC: 7F100B88
	v_cvt_f32_i32_e32 v137, v137                               // 0000000053D0: 7F120B89
	v_cvt_f32_i32_e32 v138, v138                               // 0000000053D4: 7F140B8A
	v_cvt_f32_i32_e32 v139, v139                               // 0000000053D8: 7F160B8B
	v_mul_f32_dpp v136, v29, v136 row_newbcast:0 row_mask:0xf bank_mask:0xf// 0000000053DC: 0B1110FA FF01501D
	v_mul_f32_dpp v137, v29, v137 row_newbcast:1 row_mask:0xf bank_mask:0xf// 0000000053E4: 0B1312FA FF01511D
	v_mul_f32_dpp v138, v29, v138 row_newbcast:2 row_mask:0xf bank_mask:0xf// 0000000053EC: 0B1514FA FF01521D
	v_mul_f32_dpp v139, v29, v139 row_newbcast:3 row_mask:0xf bank_mask:0xf// 0000000053F4: 0B1716FA FF01531D
	v_cvt_f32_i32_e32 v140, v140                               // 0000000053FC: 7F180B8C
	v_cvt_f32_i32_e32 v141, v141                               // 000000005400: 7F1A0B8D
	v_cvt_f32_i32_e32 v142, v142                               // 000000005404: 7F1C0B8E
	v_cvt_f32_i32_e32 v143, v143                               // 000000005408: 7F1E0B8F
	v_mul_f32_dpp v140, v29, v140 row_newbcast:4 row_mask:0xf bank_mask:0xf// 00000000540C: 0B1918FA FF01541D
	v_mul_f32_dpp v141, v29, v141 row_newbcast:5 row_mask:0xf bank_mask:0xf// 000000005414: 0B1B1AFA FF01551D
	v_mul_f32_dpp v142, v29, v142 row_newbcast:6 row_mask:0xf bank_mask:0xf// 00000000541C: 0B1D1CFA FF01561D
	v_mul_f32_dpp v143, v29, v143 row_newbcast:7 row_mask:0xf bank_mask:0xf// 000000005424: 0B1F1EFA FF01571D
	v_cvt_f32_i32_e32 v144, v144                               // 00000000542C: 7F200B90
	v_cvt_f32_i32_e32 v145, v145                               // 000000005430: 7F220B91
	v_cvt_f32_i32_e32 v146, v146                               // 000000005434: 7F240B92
	v_cvt_f32_i32_e32 v147, v147                               // 000000005438: 7F260B93
	v_mul_f32_dpp v144, v29, v144 row_newbcast:4 row_mask:0xf bank_mask:0xf// 00000000543C: 0B2120FA FF01541D
	v_mul_f32_dpp v145, v29, v145 row_newbcast:5 row_mask:0xf bank_mask:0xf// 000000005444: 0B2322FA FF01551D
	v_mul_f32_dpp v146, v29, v146 row_newbcast:6 row_mask:0xf bank_mask:0xf// 00000000544C: 0B2524FA FF01561D
	v_mul_f32_dpp v147, v29, v147 row_newbcast:7 row_mask:0xf bank_mask:0xf// 000000005454: 0B2726FA FF01571D
	v_mov_b32_e32 v4, v33                                      // 00000000545C: 7E080321
	v_mov_b32_e32 v5, v4                                       // 000000005460: 7E0A0304
	v_pk_mul_f32 v[52:53], v[4:5], v[52:53]                    // 000000005464: D3B14034 18026904
	v_pk_mul_f32 v[100:101], v[4:5], v[100:101]                // 00000000546C: D3B14064 1802C904
	v_pk_mul_f32 v[54:55], v[4:5], v[54:55]                    // 000000005474: D3B14036 18026D04
	v_pk_mul_f32 v[102:103], v[4:5], v[102:103]                // 00000000547C: D3B14066 1802CD04
	v_pk_mul_f32 v[60:61], v[4:5], v[60:61]                    // 000000005484: D3B1403C 18027904
	v_pk_mul_f32 v[108:109], v[4:5], v[108:109]                // 00000000548C: D3B1406C 1802D904
	v_pk_mul_f32 v[62:63], v[4:5], v[62:63]                    // 000000005494: D3B1403E 18027D04
	v_pk_mul_f32 v[110:111], v[4:5], v[110:111]                // 00000000549C: D3B1406E 1802DD04
	v_pk_mul_f32 v[68:69], v[4:5], v[68:69]                    // 0000000054A4: D3B14044 18028904
	v_pk_mul_f32 v[116:117], v[4:5], v[116:117]                // 0000000054AC: D3B14074 1802E904
	v_pk_mul_f32 v[70:71], v[4:5], v[70:71]                    // 0000000054B4: D3B14046 18028D04
	v_pk_mul_f32 v[118:119], v[4:5], v[118:119]                // 0000000054BC: D3B14076 1802ED04
	v_pk_mul_f32 v[76:77], v[4:5], v[76:77]                    // 0000000054C4: D3B1404C 18029904
	v_pk_mul_f32 v[124:125], v[4:5], v[124:125]                // 0000000054CC: D3B1407C 1802F904
	v_pk_mul_f32 v[78:79], v[4:5], v[78:79]                    // 0000000054D4: D3B1404E 18029D04
	v_pk_mul_f32 v[126:127], v[4:5], v[126:127]                // 0000000054DC: D3B1407E 1802FD04
	v_pk_mul_f32 v[84:85], v[4:5], v[84:85]                    // 0000000054E4: D3B14054 1802A904
	v_pk_mul_f32 v[132:133], v[4:5], v[132:133]                // 0000000054EC: D3B14084 18030904
	v_pk_mul_f32 v[86:87], v[4:5], v[86:87]                    // 0000000054F4: D3B14056 1802AD04
	v_pk_mul_f32 v[134:135], v[4:5], v[134:135]                // 0000000054FC: D3B14086 18030D04
	v_pk_mul_f32 v[92:93], v[4:5], v[92:93]                    // 000000005504: D3B1405C 1802B904
	v_pk_mul_f32 v[140:141], v[4:5], v[140:141]                // 00000000550C: D3B1408C 18031904
	v_pk_mul_f32 v[94:95], v[4:5], v[94:95]                    // 000000005514: D3B1405E 1802BD04
	v_pk_mul_f32 v[142:143], v[4:5], v[142:143]                // 00000000551C: D3B1408E 18031D04
	v_mov_b32_e32 v4, v34                                      // 000000005524: 7E080322
	v_mov_b32_e32 v5, v4                                       // 000000005528: 7E0A0304
	v_pk_mul_f32 v[56:57], v[4:5], v[56:57]                    // 00000000552C: D3B14038 18027104
	v_pk_mul_f32 v[104:105], v[4:5], v[104:105]                // 000000005534: D3B14068 1802D104
	v_pk_mul_f32 v[58:59], v[4:5], v[58:59]                    // 00000000553C: D3B1403A 18027504
	v_pk_mul_f32 v[106:107], v[4:5], v[106:107]                // 000000005544: D3B1406A 1802D504
	v_pk_mul_f32 v[64:65], v[4:5], v[64:65]                    // 00000000554C: D3B14040 18028104
	v_pk_mul_f32 v[112:113], v[4:5], v[112:113]                // 000000005554: D3B14070 1802E104
	v_pk_mul_f32 v[66:67], v[4:5], v[66:67]                    // 00000000555C: D3B14042 18028504
	v_pk_mul_f32 v[114:115], v[4:5], v[114:115]                // 000000005564: D3B14072 1802E504
	v_pk_mul_f32 v[72:73], v[4:5], v[72:73]                    // 00000000556C: D3B14048 18029104
	v_pk_mul_f32 v[120:121], v[4:5], v[120:121]                // 000000005574: D3B14078 1802F104
	v_pk_mul_f32 v[74:75], v[4:5], v[74:75]                    // 00000000557C: D3B1404A 18029504
	v_pk_mul_f32 v[122:123], v[4:5], v[122:123]                // 000000005584: D3B1407A 1802F504
	v_pk_mul_f32 v[80:81], v[4:5], v[80:81]                    // 00000000558C: D3B14050 1802A104
	v_pk_mul_f32 v[128:129], v[4:5], v[128:129]                // 000000005594: D3B14080 18030104
	v_pk_mul_f32 v[82:83], v[4:5], v[82:83]                    // 00000000559C: D3B14052 1802A504
	v_pk_mul_f32 v[130:131], v[4:5], v[130:131]                // 0000000055A4: D3B14082 18030504
	v_pk_mul_f32 v[88:89], v[4:5], v[88:89]                    // 0000000055AC: D3B14058 1802B104
	v_pk_mul_f32 v[136:137], v[4:5], v[136:137]                // 0000000055B4: D3B14088 18031104
	v_pk_mul_f32 v[90:91], v[4:5], v[90:91]                    // 0000000055BC: D3B1405A 1802B504
	v_pk_mul_f32 v[138:139], v[4:5], v[138:139]                // 0000000055C4: D3B1408A 18031504
	v_pk_mul_f32 v[96:97], v[4:5], v[96:97]                    // 0000000055CC: D3B14060 1802C104
	v_pk_mul_f32 v[144:145], v[4:5], v[144:145]                // 0000000055D4: D3B14090 18032104
	v_pk_mul_f32 v[98:99], v[4:5], v[98:99]                    // 0000000055DC: D3B14062 1802C504
	v_pk_mul_f32 v[146:147], v[4:5], v[146:147]                // 0000000055E4: D3B14092 18032504
	s_cmp_eq_u32 s88, 0                                        // 0000000055EC: BF068058
	s_cbranch_scc0 label_105E                                  // 0000000055F0: BF8405E1
	s_cmp_eq_u32 s89, 0                                        // 0000000055F4: BF068059
	s_cbranch_scc1 label_0C64                                  // 0000000055F8: BF8501E5
	v_mov_b32_e32 v8, v1                                       // 0000000055FC: 7E100301
	v_mov_b32_e32 v9, v1                                       // 000000005600: 7E120301
	s_mov_b32 s60, s6                                          // 000000005604: BEBC0006
	s_mov_b32 s61, s6                                          // 000000005608: BEBD0006
	v_pk_mul_f32 v[4:5], v[52:53], v[52:53]                    // 00000000560C: D3B14004 18026934
	v_pk_mul_f32 v[6:7], v[54:55], v[54:55]                    // 000000005614: D3B14006 18026D36
	v_pk_fma_f32 v[4:5], v[4:5], s[78:79], v[8:9]              // 00000000561C: D3B04004 1C209D04
	v_pk_fma_f32 v[6:7], v[6:7], s[78:79], v[8:9]              // 000000005624: D3B04006 1C209D06
	v_pk_mul_f32 v[4:5], v[4:5], v[52:53]                      // 00000000562C: D3B14004 18026904
	v_pk_mul_f32 v[6:7], v[6:7], v[54:55]                      // 000000005634: D3B14006 18026D06
	v_pk_mul_f32 v[4:5], v[4:5], s[60:61]                      // 00000000563C: D3B14004 18007904
	v_pk_mul_f32 v[6:7], v[6:7], s[60:61]                      // 000000005644: D3B14006 18007906
	v_exp_f32_e32 v4, v4                                       // 00000000564C: 7E084104
	v_exp_f32_e32 v5, v5                                       // 000000005650: 7E0A4105
	v_exp_f32_e32 v6, v6                                       // 000000005654: 7E0C4106
	v_exp_f32_e32 v7, v7                                       // 000000005658: 7E0E4107
	v_add_f32_e64 v4, v4, 1.0                                  // 00000000565C: D1010004 0001E504
	v_add_f32_e64 v5, v5, 1.0                                  // 000000005664: D1010005 0001E505
	v_add_f32_e64 v6, v6, 1.0                                  // 00000000566C: D1010006 0001E506
	v_add_f32_e64 v7, v7, 1.0                                  // 000000005674: D1010007 0001E507
	v_rcp_f32_e32 v4, v4                                       // 00000000567C: 7E084504
	v_rcp_f32_e32 v5, v5                                       // 000000005680: 7E0A4505
	v_rcp_f32_e32 v6, v6                                       // 000000005684: 7E0C4506
	v_rcp_f32_e32 v7, v7                                       // 000000005688: 7E0E4507
	v_mul_f32_e32 v52, v52, v4                                 // 00000000568C: 0A680934
	v_mul_f32_e32 v53, v53, v5                                 // 000000005690: 0A6A0B35
	v_mul_f32_e32 v54, v54, v6                                 // 000000005694: 0A6C0D36
	v_mul_f32_e32 v55, v55, v7                                 // 000000005698: 0A6E0F37
	v_mul_f32_e32 v52, v52, v100                               // 00000000569C: 0A68C934
	v_mul_f32_e32 v53, v53, v101                               // 0000000056A0: 0A6ACB35
	v_mul_f32_e32 v54, v54, v102                               // 0000000056A4: 0A6CCD36
	v_mul_f32_e32 v55, v55, v103                               // 0000000056A8: 0A6ECF37
	v_pk_mul_f32 v[4:5], v[56:57], v[56:57]                    // 0000000056AC: D3B14004 18027138
	v_pk_mul_f32 v[6:7], v[58:59], v[58:59]                    // 0000000056B4: D3B14006 1802753A
	v_pk_fma_f32 v[4:5], v[4:5], s[78:79], v[8:9]              // 0000000056BC: D3B04004 1C209D04
	v_pk_fma_f32 v[6:7], v[6:7], s[78:79], v[8:9]              // 0000000056C4: D3B04006 1C209D06
	v_pk_mul_f32 v[4:5], v[4:5], v[56:57]                      // 0000000056CC: D3B14004 18027104
	v_pk_mul_f32 v[6:7], v[6:7], v[58:59]                      // 0000000056D4: D3B14006 18027506
	v_pk_mul_f32 v[4:5], v[4:5], s[60:61]                      // 0000000056DC: D3B14004 18007904
	v_pk_mul_f32 v[6:7], v[6:7], s[60:61]                      // 0000000056E4: D3B14006 18007906
	v_exp_f32_e32 v4, v4                                       // 0000000056EC: 7E084104
	v_exp_f32_e32 v5, v5                                       // 0000000056F0: 7E0A4105
	v_exp_f32_e32 v6, v6                                       // 0000000056F4: 7E0C4106
	v_exp_f32_e32 v7, v7                                       // 0000000056F8: 7E0E4107
	v_add_f32_e64 v4, v4, 1.0                                  // 0000000056FC: D1010004 0001E504
	v_add_f32_e64 v5, v5, 1.0                                  // 000000005704: D1010005 0001E505
	v_add_f32_e64 v6, v6, 1.0                                  // 00000000570C: D1010006 0001E506
	v_add_f32_e64 v7, v7, 1.0                                  // 000000005714: D1010007 0001E507
	v_rcp_f32_e32 v4, v4                                       // 00000000571C: 7E084504
	v_rcp_f32_e32 v5, v5                                       // 000000005720: 7E0A4505
	v_rcp_f32_e32 v6, v6                                       // 000000005724: 7E0C4506
	v_rcp_f32_e32 v7, v7                                       // 000000005728: 7E0E4507
	v_mul_f32_e32 v56, v56, v4                                 // 00000000572C: 0A700938
	v_mul_f32_e32 v57, v57, v5                                 // 000000005730: 0A720B39
	v_mul_f32_e32 v58, v58, v6                                 // 000000005734: 0A740D3A
	v_mul_f32_e32 v59, v59, v7                                 // 000000005738: 0A760F3B
	v_mul_f32_e32 v56, v56, v104                               // 00000000573C: 0A70D138
	v_mul_f32_e32 v57, v57, v105                               // 000000005740: 0A72D339
	v_mul_f32_e32 v58, v58, v106                               // 000000005744: 0A74D53A
	v_mul_f32_e32 v59, v59, v107                               // 000000005748: 0A76D73B
	v_pk_mul_f32 v[4:5], v[60:61], v[60:61]                    // 00000000574C: D3B14004 1802793C
	v_pk_mul_f32 v[6:7], v[62:63], v[62:63]                    // 000000005754: D3B14006 18027D3E
	v_pk_fma_f32 v[4:5], v[4:5], s[78:79], v[8:9]              // 00000000575C: D3B04004 1C209D04
	v_pk_fma_f32 v[6:7], v[6:7], s[78:79], v[8:9]              // 000000005764: D3B04006 1C209D06
	v_pk_mul_f32 v[4:5], v[4:5], v[60:61]                      // 00000000576C: D3B14004 18027904
	v_pk_mul_f32 v[6:7], v[6:7], v[62:63]                      // 000000005774: D3B14006 18027D06
	v_pk_mul_f32 v[4:5], v[4:5], s[60:61]                      // 00000000577C: D3B14004 18007904
	v_pk_mul_f32 v[6:7], v[6:7], s[60:61]                      // 000000005784: D3B14006 18007906
	v_exp_f32_e32 v4, v4                                       // 00000000578C: 7E084104
	v_exp_f32_e32 v5, v5                                       // 000000005790: 7E0A4105
	v_exp_f32_e32 v6, v6                                       // 000000005794: 7E0C4106
	v_exp_f32_e32 v7, v7                                       // 000000005798: 7E0E4107
	v_add_f32_e64 v4, v4, 1.0                                  // 00000000579C: D1010004 0001E504
	v_add_f32_e64 v5, v5, 1.0                                  // 0000000057A4: D1010005 0001E505
	v_add_f32_e64 v6, v6, 1.0                                  // 0000000057AC: D1010006 0001E506
	v_add_f32_e64 v7, v7, 1.0                                  // 0000000057B4: D1010007 0001E507
	v_rcp_f32_e32 v4, v4                                       // 0000000057BC: 7E084504
	v_rcp_f32_e32 v5, v5                                       // 0000000057C0: 7E0A4505
	v_rcp_f32_e32 v6, v6                                       // 0000000057C4: 7E0C4506
	v_rcp_f32_e32 v7, v7                                       // 0000000057C8: 7E0E4507
	v_mul_f32_e32 v60, v60, v4                                 // 0000000057CC: 0A78093C
	v_mul_f32_e32 v61, v61, v5                                 // 0000000057D0: 0A7A0B3D
	v_mul_f32_e32 v62, v62, v6                                 // 0000000057D4: 0A7C0D3E
	v_mul_f32_e32 v63, v63, v7                                 // 0000000057D8: 0A7E0F3F
	v_mul_f32_e32 v60, v60, v108                               // 0000000057DC: 0A78D93C
	v_mul_f32_e32 v61, v61, v109                               // 0000000057E0: 0A7ADB3D
	v_mul_f32_e32 v62, v62, v110                               // 0000000057E4: 0A7CDD3E
	v_mul_f32_e32 v63, v63, v111                               // 0000000057E8: 0A7EDF3F
	v_pk_mul_f32 v[4:5], v[64:65], v[64:65]                    // 0000000057EC: D3B14004 18028140
	v_pk_mul_f32 v[6:7], v[66:67], v[66:67]                    // 0000000057F4: D3B14006 18028542
	v_pk_fma_f32 v[4:5], v[4:5], s[78:79], v[8:9]              // 0000000057FC: D3B04004 1C209D04
	v_pk_fma_f32 v[6:7], v[6:7], s[78:79], v[8:9]              // 000000005804: D3B04006 1C209D06
	v_pk_mul_f32 v[4:5], v[4:5], v[64:65]                      // 00000000580C: D3B14004 18028104
	v_pk_mul_f32 v[6:7], v[6:7], v[66:67]                      // 000000005814: D3B14006 18028506
	v_pk_mul_f32 v[4:5], v[4:5], s[60:61]                      // 00000000581C: D3B14004 18007904
	v_pk_mul_f32 v[6:7], v[6:7], s[60:61]                      // 000000005824: D3B14006 18007906
	v_exp_f32_e32 v4, v4                                       // 00000000582C: 7E084104
	v_exp_f32_e32 v5, v5                                       // 000000005830: 7E0A4105
	v_exp_f32_e32 v6, v6                                       // 000000005834: 7E0C4106
	v_exp_f32_e32 v7, v7                                       // 000000005838: 7E0E4107
	v_add_f32_e64 v4, v4, 1.0                                  // 00000000583C: D1010004 0001E504
	v_add_f32_e64 v5, v5, 1.0                                  // 000000005844: D1010005 0001E505
	v_add_f32_e64 v6, v6, 1.0                                  // 00000000584C: D1010006 0001E506
	v_add_f32_e64 v7, v7, 1.0                                  // 000000005854: D1010007 0001E507
	v_rcp_f32_e32 v4, v4                                       // 00000000585C: 7E084504
	v_rcp_f32_e32 v5, v5                                       // 000000005860: 7E0A4505
	v_rcp_f32_e32 v6, v6                                       // 000000005864: 7E0C4506
	v_rcp_f32_e32 v7, v7                                       // 000000005868: 7E0E4507
	v_mul_f32_e32 v64, v64, v4                                 // 00000000586C: 0A800940
	v_mul_f32_e32 v65, v65, v5                                 // 000000005870: 0A820B41
	v_mul_f32_e32 v66, v66, v6                                 // 000000005874: 0A840D42
	v_mul_f32_e32 v67, v67, v7                                 // 000000005878: 0A860F43
	v_mul_f32_e32 v64, v64, v112                               // 00000000587C: 0A80E140
	v_mul_f32_e32 v65, v65, v113                               // 000000005880: 0A82E341
	v_mul_f32_e32 v66, v66, v114                               // 000000005884: 0A84E542
	v_mul_f32_e32 v67, v67, v115                               // 000000005888: 0A86E743
	v_pk_mul_f32 v[4:5], v[68:69], v[68:69]                    // 00000000588C: D3B14004 18028944
	v_pk_mul_f32 v[6:7], v[70:71], v[70:71]                    // 000000005894: D3B14006 18028D46
	v_pk_fma_f32 v[4:5], v[4:5], s[78:79], v[8:9]              // 00000000589C: D3B04004 1C209D04
	v_pk_fma_f32 v[6:7], v[6:7], s[78:79], v[8:9]              // 0000000058A4: D3B04006 1C209D06
	v_pk_mul_f32 v[4:5], v[4:5], v[68:69]                      // 0000000058AC: D3B14004 18028904
	v_pk_mul_f32 v[6:7], v[6:7], v[70:71]                      // 0000000058B4: D3B14006 18028D06
	v_pk_mul_f32 v[4:5], v[4:5], s[60:61]                      // 0000000058BC: D3B14004 18007904
	v_pk_mul_f32 v[6:7], v[6:7], s[60:61]                      // 0000000058C4: D3B14006 18007906
	v_exp_f32_e32 v4, v4                                       // 0000000058CC: 7E084104
	v_exp_f32_e32 v5, v5                                       // 0000000058D0: 7E0A4105
	v_exp_f32_e32 v6, v6                                       // 0000000058D4: 7E0C4106
	v_exp_f32_e32 v7, v7                                       // 0000000058D8: 7E0E4107
	v_add_f32_e64 v4, v4, 1.0                                  // 0000000058DC: D1010004 0001E504
	v_add_f32_e64 v5, v5, 1.0                                  // 0000000058E4: D1010005 0001E505
	v_add_f32_e64 v6, v6, 1.0                                  // 0000000058EC: D1010006 0001E506
	v_add_f32_e64 v7, v7, 1.0                                  // 0000000058F4: D1010007 0001E507
	v_rcp_f32_e32 v4, v4                                       // 0000000058FC: 7E084504
	v_rcp_f32_e32 v5, v5                                       // 000000005900: 7E0A4505
	v_rcp_f32_e32 v6, v6                                       // 000000005904: 7E0C4506
	v_rcp_f32_e32 v7, v7                                       // 000000005908: 7E0E4507
	v_mul_f32_e32 v68, v68, v4                                 // 00000000590C: 0A880944
	v_mul_f32_e32 v69, v69, v5                                 // 000000005910: 0A8A0B45
	v_mul_f32_e32 v70, v70, v6                                 // 000000005914: 0A8C0D46
	v_mul_f32_e32 v71, v71, v7                                 // 000000005918: 0A8E0F47
	v_mul_f32_e32 v68, v68, v116                               // 00000000591C: 0A88E944
	v_mul_f32_e32 v69, v69, v117                               // 000000005920: 0A8AEB45
	v_mul_f32_e32 v70, v70, v118                               // 000000005924: 0A8CED46
	v_mul_f32_e32 v71, v71, v119                               // 000000005928: 0A8EEF47
	v_pk_mul_f32 v[4:5], v[72:73], v[72:73]                    // 00000000592C: D3B14004 18029148
	v_pk_mul_f32 v[6:7], v[74:75], v[74:75]                    // 000000005934: D3B14006 1802954A
	v_pk_fma_f32 v[4:5], v[4:5], s[78:79], v[8:9]              // 00000000593C: D3B04004 1C209D04
	v_pk_fma_f32 v[6:7], v[6:7], s[78:79], v[8:9]              // 000000005944: D3B04006 1C209D06
	v_pk_mul_f32 v[4:5], v[4:5], v[72:73]                      // 00000000594C: D3B14004 18029104
	v_pk_mul_f32 v[6:7], v[6:7], v[74:75]                      // 000000005954: D3B14006 18029506
	v_pk_mul_f32 v[4:5], v[4:5], s[60:61]                      // 00000000595C: D3B14004 18007904
	v_pk_mul_f32 v[6:7], v[6:7], s[60:61]                      // 000000005964: D3B14006 18007906
	v_exp_f32_e32 v4, v4                                       // 00000000596C: 7E084104
	v_exp_f32_e32 v5, v5                                       // 000000005970: 7E0A4105
	v_exp_f32_e32 v6, v6                                       // 000000005974: 7E0C4106
	v_exp_f32_e32 v7, v7                                       // 000000005978: 7E0E4107
	v_add_f32_e64 v4, v4, 1.0                                  // 00000000597C: D1010004 0001E504
	v_add_f32_e64 v5, v5, 1.0                                  // 000000005984: D1010005 0001E505
	v_add_f32_e64 v6, v6, 1.0                                  // 00000000598C: D1010006 0001E506
	v_add_f32_e64 v7, v7, 1.0                                  // 000000005994: D1010007 0001E507
	v_rcp_f32_e32 v4, v4                                       // 00000000599C: 7E084504
	v_rcp_f32_e32 v5, v5                                       // 0000000059A0: 7E0A4505
	v_rcp_f32_e32 v6, v6                                       // 0000000059A4: 7E0C4506
	v_rcp_f32_e32 v7, v7                                       // 0000000059A8: 7E0E4507
	v_mul_f32_e32 v72, v72, v4                                 // 0000000059AC: 0A900948
	v_mul_f32_e32 v73, v73, v5                                 // 0000000059B0: 0A920B49
	v_mul_f32_e32 v74, v74, v6                                 // 0000000059B4: 0A940D4A
	v_mul_f32_e32 v75, v75, v7                                 // 0000000059B8: 0A960F4B
	v_mul_f32_e32 v72, v72, v120                               // 0000000059BC: 0A90F148
	v_mul_f32_e32 v73, v73, v121                               // 0000000059C0: 0A92F349
	v_mul_f32_e32 v74, v74, v122                               // 0000000059C4: 0A94F54A
	v_mul_f32_e32 v75, v75, v123                               // 0000000059C8: 0A96F74B
	v_pk_mul_f32 v[4:5], v[76:77], v[76:77]                    // 0000000059CC: D3B14004 1802994C
	v_pk_mul_f32 v[6:7], v[78:79], v[78:79]                    // 0000000059D4: D3B14006 18029D4E
	v_pk_fma_f32 v[4:5], v[4:5], s[78:79], v[8:9]              // 0000000059DC: D3B04004 1C209D04
	v_pk_fma_f32 v[6:7], v[6:7], s[78:79], v[8:9]              // 0000000059E4: D3B04006 1C209D06
	v_pk_mul_f32 v[4:5], v[4:5], v[76:77]                      // 0000000059EC: D3B14004 18029904
	v_pk_mul_f32 v[6:7], v[6:7], v[78:79]                      // 0000000059F4: D3B14006 18029D06
	v_pk_mul_f32 v[4:5], v[4:5], s[60:61]                      // 0000000059FC: D3B14004 18007904
	v_pk_mul_f32 v[6:7], v[6:7], s[60:61]                      // 000000005A04: D3B14006 18007906
	v_exp_f32_e32 v4, v4                                       // 000000005A0C: 7E084104
	v_exp_f32_e32 v5, v5                                       // 000000005A10: 7E0A4105
	v_exp_f32_e32 v6, v6                                       // 000000005A14: 7E0C4106
	v_exp_f32_e32 v7, v7                                       // 000000005A18: 7E0E4107
	v_add_f32_e64 v4, v4, 1.0                                  // 000000005A1C: D1010004 0001E504
	v_add_f32_e64 v5, v5, 1.0                                  // 000000005A24: D1010005 0001E505
	v_add_f32_e64 v6, v6, 1.0                                  // 000000005A2C: D1010006 0001E506
	v_add_f32_e64 v7, v7, 1.0                                  // 000000005A34: D1010007 0001E507
	v_rcp_f32_e32 v4, v4                                       // 000000005A3C: 7E084504
	v_rcp_f32_e32 v5, v5                                       // 000000005A40: 7E0A4505
	v_rcp_f32_e32 v6, v6                                       // 000000005A44: 7E0C4506
	v_rcp_f32_e32 v7, v7                                       // 000000005A48: 7E0E4507
	v_mul_f32_e32 v76, v76, v4                                 // 000000005A4C: 0A98094C
	v_mul_f32_e32 v77, v77, v5                                 // 000000005A50: 0A9A0B4D
	v_mul_f32_e32 v78, v78, v6                                 // 000000005A54: 0A9C0D4E
	v_mul_f32_e32 v79, v79, v7                                 // 000000005A58: 0A9E0F4F
	v_mul_f32_e32 v76, v76, v124                               // 000000005A5C: 0A98F94C
	v_mul_f32_e32 v77, v77, v125                               // 000000005A60: 0A9AFB4D
	v_mul_f32_e32 v78, v78, v126                               // 000000005A64: 0A9CFD4E
	v_mul_f32_e32 v79, v79, v127                               // 000000005A68: 0A9EFF4F
	v_pk_mul_f32 v[4:5], v[80:81], v[80:81]                    // 000000005A6C: D3B14004 1802A150
	v_pk_mul_f32 v[6:7], v[82:83], v[82:83]                    // 000000005A74: D3B14006 1802A552
	v_pk_fma_f32 v[4:5], v[4:5], s[78:79], v[8:9]              // 000000005A7C: D3B04004 1C209D04
	v_pk_fma_f32 v[6:7], v[6:7], s[78:79], v[8:9]              // 000000005A84: D3B04006 1C209D06
	v_pk_mul_f32 v[4:5], v[4:5], v[80:81]                      // 000000005A8C: D3B14004 1802A104
	v_pk_mul_f32 v[6:7], v[6:7], v[82:83]                      // 000000005A94: D3B14006 1802A506
	v_pk_mul_f32 v[4:5], v[4:5], s[60:61]                      // 000000005A9C: D3B14004 18007904
	v_pk_mul_f32 v[6:7], v[6:7], s[60:61]                      // 000000005AA4: D3B14006 18007906
	v_exp_f32_e32 v4, v4                                       // 000000005AAC: 7E084104
	v_exp_f32_e32 v5, v5                                       // 000000005AB0: 7E0A4105
	v_exp_f32_e32 v6, v6                                       // 000000005AB4: 7E0C4106
	v_exp_f32_e32 v7, v7                                       // 000000005AB8: 7E0E4107
	v_add_f32_e64 v4, v4, 1.0                                  // 000000005ABC: D1010004 0001E504
	v_add_f32_e64 v5, v5, 1.0                                  // 000000005AC4: D1010005 0001E505
	v_add_f32_e64 v6, v6, 1.0                                  // 000000005ACC: D1010006 0001E506
	v_add_f32_e64 v7, v7, 1.0                                  // 000000005AD4: D1010007 0001E507
	v_rcp_f32_e32 v4, v4                                       // 000000005ADC: 7E084504
	v_rcp_f32_e32 v5, v5                                       // 000000005AE0: 7E0A4505
	v_rcp_f32_e32 v6, v6                                       // 000000005AE4: 7E0C4506
	v_rcp_f32_e32 v7, v7                                       // 000000005AE8: 7E0E4507
	v_mul_f32_e32 v80, v80, v4                                 // 000000005AEC: 0AA00950
	v_mul_f32_e32 v81, v81, v5                                 // 000000005AF0: 0AA20B51
	v_mul_f32_e32 v82, v82, v6                                 // 000000005AF4: 0AA40D52
	v_mul_f32_e32 v83, v83, v7                                 // 000000005AF8: 0AA60F53
	v_mul_f32_e32 v80, v80, v128                               // 000000005AFC: 0AA10150
	v_mul_f32_e32 v81, v81, v129                               // 000000005B00: 0AA30351
	v_mul_f32_e32 v82, v82, v130                               // 000000005B04: 0AA50552
	v_mul_f32_e32 v83, v83, v131                               // 000000005B08: 0AA70753
	v_pk_mul_f32 v[4:5], v[84:85], v[84:85]                    // 000000005B0C: D3B14004 1802A954
	v_pk_mul_f32 v[6:7], v[86:87], v[86:87]                    // 000000005B14: D3B14006 1802AD56
	v_pk_fma_f32 v[4:5], v[4:5], s[78:79], v[8:9]              // 000000005B1C: D3B04004 1C209D04
	v_pk_fma_f32 v[6:7], v[6:7], s[78:79], v[8:9]              // 000000005B24: D3B04006 1C209D06
	v_pk_mul_f32 v[4:5], v[4:5], v[84:85]                      // 000000005B2C: D3B14004 1802A904
	v_pk_mul_f32 v[6:7], v[6:7], v[86:87]                      // 000000005B34: D3B14006 1802AD06
	v_pk_mul_f32 v[4:5], v[4:5], s[60:61]                      // 000000005B3C: D3B14004 18007904
	v_pk_mul_f32 v[6:7], v[6:7], s[60:61]                      // 000000005B44: D3B14006 18007906
	v_exp_f32_e32 v4, v4                                       // 000000005B4C: 7E084104
	v_exp_f32_e32 v5, v5                                       // 000000005B50: 7E0A4105
	v_exp_f32_e32 v6, v6                                       // 000000005B54: 7E0C4106
	v_exp_f32_e32 v7, v7                                       // 000000005B58: 7E0E4107
	v_add_f32_e64 v4, v4, 1.0                                  // 000000005B5C: D1010004 0001E504
	v_add_f32_e64 v5, v5, 1.0                                  // 000000005B64: D1010005 0001E505
	v_add_f32_e64 v6, v6, 1.0                                  // 000000005B6C: D1010006 0001E506
	v_add_f32_e64 v7, v7, 1.0                                  // 000000005B74: D1010007 0001E507
	v_rcp_f32_e32 v4, v4                                       // 000000005B7C: 7E084504
	v_rcp_f32_e32 v5, v5                                       // 000000005B80: 7E0A4505
	v_rcp_f32_e32 v6, v6                                       // 000000005B84: 7E0C4506
	v_rcp_f32_e32 v7, v7                                       // 000000005B88: 7E0E4507
	v_mul_f32_e32 v84, v84, v4                                 // 000000005B8C: 0AA80954
	v_mul_f32_e32 v85, v85, v5                                 // 000000005B90: 0AAA0B55
	v_mul_f32_e32 v86, v86, v6                                 // 000000005B94: 0AAC0D56
	v_mul_f32_e32 v87, v87, v7                                 // 000000005B98: 0AAE0F57
	v_mul_f32_e32 v84, v84, v132                               // 000000005B9C: 0AA90954
	v_mul_f32_e32 v85, v85, v133                               // 000000005BA0: 0AAB0B55
	v_mul_f32_e32 v86, v86, v134                               // 000000005BA4: 0AAD0D56
	v_mul_f32_e32 v87, v87, v135                               // 000000005BA8: 0AAF0F57
	v_pk_mul_f32 v[4:5], v[88:89], v[88:89]                    // 000000005BAC: D3B14004 1802B158
	v_pk_mul_f32 v[6:7], v[90:91], v[90:91]                    // 000000005BB4: D3B14006 1802B55A
	v_pk_fma_f32 v[4:5], v[4:5], s[78:79], v[8:9]              // 000000005BBC: D3B04004 1C209D04
	v_pk_fma_f32 v[6:7], v[6:7], s[78:79], v[8:9]              // 000000005BC4: D3B04006 1C209D06
	v_pk_mul_f32 v[4:5], v[4:5], v[88:89]                      // 000000005BCC: D3B14004 1802B104
	v_pk_mul_f32 v[6:7], v[6:7], v[90:91]                      // 000000005BD4: D3B14006 1802B506
	v_pk_mul_f32 v[4:5], v[4:5], s[60:61]                      // 000000005BDC: D3B14004 18007904
	v_pk_mul_f32 v[6:7], v[6:7], s[60:61]                      // 000000005BE4: D3B14006 18007906
	v_exp_f32_e32 v4, v4                                       // 000000005BEC: 7E084104
	v_exp_f32_e32 v5, v5                                       // 000000005BF0: 7E0A4105
	v_exp_f32_e32 v6, v6                                       // 000000005BF4: 7E0C4106
	v_exp_f32_e32 v7, v7                                       // 000000005BF8: 7E0E4107
	v_add_f32_e64 v4, v4, 1.0                                  // 000000005BFC: D1010004 0001E504
	v_add_f32_e64 v5, v5, 1.0                                  // 000000005C04: D1010005 0001E505
	v_add_f32_e64 v6, v6, 1.0                                  // 000000005C0C: D1010006 0001E506
	v_add_f32_e64 v7, v7, 1.0                                  // 000000005C14: D1010007 0001E507
	v_rcp_f32_e32 v4, v4                                       // 000000005C1C: 7E084504
	v_rcp_f32_e32 v5, v5                                       // 000000005C20: 7E0A4505
	v_rcp_f32_e32 v6, v6                                       // 000000005C24: 7E0C4506
	v_rcp_f32_e32 v7, v7                                       // 000000005C28: 7E0E4507
	v_mul_f32_e32 v88, v88, v4                                 // 000000005C2C: 0AB00958
	v_mul_f32_e32 v89, v89, v5                                 // 000000005C30: 0AB20B59
	v_mul_f32_e32 v90, v90, v6                                 // 000000005C34: 0AB40D5A
	v_mul_f32_e32 v91, v91, v7                                 // 000000005C38: 0AB60F5B
	v_mul_f32_e32 v88, v88, v136                               // 000000005C3C: 0AB11158
	v_mul_f32_e32 v89, v89, v137                               // 000000005C40: 0AB31359
	v_mul_f32_e32 v90, v90, v138                               // 000000005C44: 0AB5155A
	v_mul_f32_e32 v91, v91, v139                               // 000000005C48: 0AB7175B
	v_pk_mul_f32 v[4:5], v[92:93], v[92:93]                    // 000000005C4C: D3B14004 1802B95C
	v_pk_mul_f32 v[6:7], v[94:95], v[94:95]                    // 000000005C54: D3B14006 1802BD5E
	v_pk_fma_f32 v[4:5], v[4:5], s[78:79], v[8:9]              // 000000005C5C: D3B04004 1C209D04
	v_pk_fma_f32 v[6:7], v[6:7], s[78:79], v[8:9]              // 000000005C64: D3B04006 1C209D06
	v_pk_mul_f32 v[4:5], v[4:5], v[92:93]                      // 000000005C6C: D3B14004 1802B904
	v_pk_mul_f32 v[6:7], v[6:7], v[94:95]                      // 000000005C74: D3B14006 1802BD06
	v_pk_mul_f32 v[4:5], v[4:5], s[60:61]                      // 000000005C7C: D3B14004 18007904
	v_pk_mul_f32 v[6:7], v[6:7], s[60:61]                      // 000000005C84: D3B14006 18007906
	v_exp_f32_e32 v4, v4                                       // 000000005C8C: 7E084104
	v_exp_f32_e32 v5, v5                                       // 000000005C90: 7E0A4105
	v_exp_f32_e32 v6, v6                                       // 000000005C94: 7E0C4106
	v_exp_f32_e32 v7, v7                                       // 000000005C98: 7E0E4107
	v_add_f32_e64 v4, v4, 1.0                                  // 000000005C9C: D1010004 0001E504
	v_add_f32_e64 v5, v5, 1.0                                  // 000000005CA4: D1010005 0001E505
	v_add_f32_e64 v6, v6, 1.0                                  // 000000005CAC: D1010006 0001E506
	v_add_f32_e64 v7, v7, 1.0                                  // 000000005CB4: D1010007 0001E507
	v_rcp_f32_e32 v4, v4                                       // 000000005CBC: 7E084504
	v_rcp_f32_e32 v5, v5                                       // 000000005CC0: 7E0A4505
	v_rcp_f32_e32 v6, v6                                       // 000000005CC4: 7E0C4506
	v_rcp_f32_e32 v7, v7                                       // 000000005CC8: 7E0E4507
	v_mul_f32_e32 v92, v92, v4                                 // 000000005CCC: 0AB8095C
	v_mul_f32_e32 v93, v93, v5                                 // 000000005CD0: 0ABA0B5D
	v_mul_f32_e32 v94, v94, v6                                 // 000000005CD4: 0ABC0D5E
	v_mul_f32_e32 v95, v95, v7                                 // 000000005CD8: 0ABE0F5F
	v_mul_f32_e32 v92, v92, v140                               // 000000005CDC: 0AB9195C
	v_mul_f32_e32 v93, v93, v141                               // 000000005CE0: 0ABB1B5D
	v_mul_f32_e32 v94, v94, v142                               // 000000005CE4: 0ABD1D5E
	v_mul_f32_e32 v95, v95, v143                               // 000000005CE8: 0ABF1F5F
	v_pk_mul_f32 v[4:5], v[96:97], v[96:97]                    // 000000005CEC: D3B14004 1802C160
	v_pk_mul_f32 v[6:7], v[98:99], v[98:99]                    // 000000005CF4: D3B14006 1802C562
	v_pk_fma_f32 v[4:5], v[4:5], s[78:79], v[8:9]              // 000000005CFC: D3B04004 1C209D04
	v_pk_fma_f32 v[6:7], v[6:7], s[78:79], v[8:9]              // 000000005D04: D3B04006 1C209D06
	v_pk_mul_f32 v[4:5], v[4:5], v[96:97]                      // 000000005D0C: D3B14004 1802C104
	v_pk_mul_f32 v[6:7], v[6:7], v[98:99]                      // 000000005D14: D3B14006 1802C506
	v_pk_mul_f32 v[4:5], v[4:5], s[60:61]                      // 000000005D1C: D3B14004 18007904
	v_pk_mul_f32 v[6:7], v[6:7], s[60:61]                      // 000000005D24: D3B14006 18007906
	v_exp_f32_e32 v4, v4                                       // 000000005D2C: 7E084104
	v_exp_f32_e32 v5, v5                                       // 000000005D30: 7E0A4105
	v_exp_f32_e32 v6, v6                                       // 000000005D34: 7E0C4106
	v_exp_f32_e32 v7, v7                                       // 000000005D38: 7E0E4107
	v_add_f32_e64 v4, v4, 1.0                                  // 000000005D3C: D1010004 0001E504
	v_add_f32_e64 v5, v5, 1.0                                  // 000000005D44: D1010005 0001E505
	v_add_f32_e64 v6, v6, 1.0                                  // 000000005D4C: D1010006 0001E506
	v_add_f32_e64 v7, v7, 1.0                                  // 000000005D54: D1010007 0001E507
	v_rcp_f32_e32 v4, v4                                       // 000000005D5C: 7E084504
	v_rcp_f32_e32 v5, v5                                       // 000000005D60: 7E0A4505
	v_rcp_f32_e32 v6, v6                                       // 000000005D64: 7E0C4506
	v_rcp_f32_e32 v7, v7                                       // 000000005D68: 7E0E4507
	v_mul_f32_e32 v96, v96, v4                                 // 000000005D6C: 0AC00960
	v_mul_f32_e32 v97, v97, v5                                 // 000000005D70: 0AC20B61
	v_mul_f32_e32 v98, v98, v6                                 // 000000005D74: 0AC40D62
	v_mul_f32_e32 v99, v99, v7                                 // 000000005D78: 0AC60F63
	v_mul_f32_e32 v96, v96, v144                               // 000000005D7C: 0AC12160
	v_mul_f32_e32 v97, v97, v145                               // 000000005D80: 0AC32361
	v_mul_f32_e32 v98, v98, v146                               // 000000005D84: 0AC52562
	v_mul_f32_e32 v99, v99, v147                               // 000000005D88: 0AC72763
	s_branch label_0DE4                                        // 000000005D8C: BF820180

0000000000005d90 <label_0C64>:
	v_mul_f32_e64 v4, -v52, s6                                 // 000000005D90: D1050004 20000D34
	v_mul_f32_e64 v5, -v53, s6                                 // 000000005D98: D1050005 20000D35
	v_mul_f32_e64 v6, -v54, s6                                 // 000000005DA0: D1050006 20000D36
	v_mul_f32_e64 v7, -v55, s6                                 // 000000005DA8: D1050007 20000D37
	v_exp_f32_e32 v4, v4                                       // 000000005DB0: 7E084104
	v_exp_f32_e32 v5, v5                                       // 000000005DB4: 7E0A4105
	v_exp_f32_e32 v6, v6                                       // 000000005DB8: 7E0C4106
	v_exp_f32_e32 v7, v7                                       // 000000005DBC: 7E0E4107
	v_add_f32_e64 v4, v4, 1.0                                  // 000000005DC0: D1010004 0001E504
	v_add_f32_e64 v5, v5, 1.0                                  // 000000005DC8: D1010005 0001E505
	v_add_f32_e64 v6, v6, 1.0                                  // 000000005DD0: D1010006 0001E506
	v_add_f32_e64 v7, v7, 1.0                                  // 000000005DD8: D1010007 0001E507
	v_rcp_f32_e32 v4, v4                                       // 000000005DE0: 7E084504
	v_rcp_f32_e32 v5, v5                                       // 000000005DE4: 7E0A4505
	v_rcp_f32_e32 v6, v6                                       // 000000005DE8: 7E0C4506
	v_rcp_f32_e32 v7, v7                                       // 000000005DEC: 7E0E4507
	v_mul_f32_e32 v52, v52, v4                                 // 000000005DF0: 0A680934
	v_mul_f32_e32 v53, v53, v5                                 // 000000005DF4: 0A6A0B35
	v_mul_f32_e32 v54, v54, v6                                 // 000000005DF8: 0A6C0D36
	v_mul_f32_e32 v55, v55, v7                                 // 000000005DFC: 0A6E0F37
	v_mul_f32_e32 v52, v52, v100                               // 000000005E00: 0A68C934
	v_mul_f32_e32 v53, v53, v101                               // 000000005E04: 0A6ACB35
	v_mul_f32_e32 v54, v54, v102                               // 000000005E08: 0A6CCD36
	v_mul_f32_e32 v55, v55, v103                               // 000000005E0C: 0A6ECF37
	v_mul_f32_e64 v4, -v56, s6                                 // 000000005E10: D1050004 20000D38
	v_mul_f32_e64 v5, -v57, s6                                 // 000000005E18: D1050005 20000D39
	v_mul_f32_e64 v6, -v58, s6                                 // 000000005E20: D1050006 20000D3A
	v_mul_f32_e64 v7, -v59, s6                                 // 000000005E28: D1050007 20000D3B
	v_exp_f32_e32 v4, v4                                       // 000000005E30: 7E084104
	v_exp_f32_e32 v5, v5                                       // 000000005E34: 7E0A4105
	v_exp_f32_e32 v6, v6                                       // 000000005E38: 7E0C4106
	v_exp_f32_e32 v7, v7                                       // 000000005E3C: 7E0E4107
	v_add_f32_e64 v4, v4, 1.0                                  // 000000005E40: D1010004 0001E504
	v_add_f32_e64 v5, v5, 1.0                                  // 000000005E48: D1010005 0001E505
	v_add_f32_e64 v6, v6, 1.0                                  // 000000005E50: D1010006 0001E506
	v_add_f32_e64 v7, v7, 1.0                                  // 000000005E58: D1010007 0001E507
	v_rcp_f32_e32 v4, v4                                       // 000000005E60: 7E084504
	v_rcp_f32_e32 v5, v5                                       // 000000005E64: 7E0A4505
	v_rcp_f32_e32 v6, v6                                       // 000000005E68: 7E0C4506
	v_rcp_f32_e32 v7, v7                                       // 000000005E6C: 7E0E4507
	v_mul_f32_e32 v56, v56, v4                                 // 000000005E70: 0A700938
	v_mul_f32_e32 v57, v57, v5                                 // 000000005E74: 0A720B39
	v_mul_f32_e32 v58, v58, v6                                 // 000000005E78: 0A740D3A
	v_mul_f32_e32 v59, v59, v7                                 // 000000005E7C: 0A760F3B
	v_mul_f32_e32 v56, v56, v104                               // 000000005E80: 0A70D138
	v_mul_f32_e32 v57, v57, v105                               // 000000005E84: 0A72D339
	v_mul_f32_e32 v58, v58, v106                               // 000000005E88: 0A74D53A
	v_mul_f32_e32 v59, v59, v107                               // 000000005E8C: 0A76D73B
	v_mul_f32_e64 v4, -v60, s6                                 // 000000005E90: D1050004 20000D3C
	v_mul_f32_e64 v5, -v61, s6                                 // 000000005E98: D1050005 20000D3D
	v_mul_f32_e64 v6, -v62, s6                                 // 000000005EA0: D1050006 20000D3E
	v_mul_f32_e64 v7, -v63, s6                                 // 000000005EA8: D1050007 20000D3F
	v_exp_f32_e32 v4, v4                                       // 000000005EB0: 7E084104
	v_exp_f32_e32 v5, v5                                       // 000000005EB4: 7E0A4105
	v_exp_f32_e32 v6, v6                                       // 000000005EB8: 7E0C4106
	v_exp_f32_e32 v7, v7                                       // 000000005EBC: 7E0E4107
	v_add_f32_e64 v4, v4, 1.0                                  // 000000005EC0: D1010004 0001E504
	v_add_f32_e64 v5, v5, 1.0                                  // 000000005EC8: D1010005 0001E505
	v_add_f32_e64 v6, v6, 1.0                                  // 000000005ED0: D1010006 0001E506
	v_add_f32_e64 v7, v7, 1.0                                  // 000000005ED8: D1010007 0001E507
	v_rcp_f32_e32 v4, v4                                       // 000000005EE0: 7E084504
	v_rcp_f32_e32 v5, v5                                       // 000000005EE4: 7E0A4505
	v_rcp_f32_e32 v6, v6                                       // 000000005EE8: 7E0C4506
	v_rcp_f32_e32 v7, v7                                       // 000000005EEC: 7E0E4507
	v_mul_f32_e32 v60, v60, v4                                 // 000000005EF0: 0A78093C
	v_mul_f32_e32 v61, v61, v5                                 // 000000005EF4: 0A7A0B3D
	v_mul_f32_e32 v62, v62, v6                                 // 000000005EF8: 0A7C0D3E
	v_mul_f32_e32 v63, v63, v7                                 // 000000005EFC: 0A7E0F3F
	v_mul_f32_e32 v60, v60, v108                               // 000000005F00: 0A78D93C
	v_mul_f32_e32 v61, v61, v109                               // 000000005F04: 0A7ADB3D
	v_mul_f32_e32 v62, v62, v110                               // 000000005F08: 0A7CDD3E
	v_mul_f32_e32 v63, v63, v111                               // 000000005F0C: 0A7EDF3F
	v_mul_f32_e64 v4, -v64, s6                                 // 000000005F10: D1050004 20000D40
	v_mul_f32_e64 v5, -v65, s6                                 // 000000005F18: D1050005 20000D41
	v_mul_f32_e64 v6, -v66, s6                                 // 000000005F20: D1050006 20000D42
	v_mul_f32_e64 v7, -v67, s6                                 // 000000005F28: D1050007 20000D43
	v_exp_f32_e32 v4, v4                                       // 000000005F30: 7E084104
	v_exp_f32_e32 v5, v5                                       // 000000005F34: 7E0A4105
	v_exp_f32_e32 v6, v6                                       // 000000005F38: 7E0C4106
	v_exp_f32_e32 v7, v7                                       // 000000005F3C: 7E0E4107
	v_add_f32_e64 v4, v4, 1.0                                  // 000000005F40: D1010004 0001E504
	v_add_f32_e64 v5, v5, 1.0                                  // 000000005F48: D1010005 0001E505
	v_add_f32_e64 v6, v6, 1.0                                  // 000000005F50: D1010006 0001E506
	v_add_f32_e64 v7, v7, 1.0                                  // 000000005F58: D1010007 0001E507
	v_rcp_f32_e32 v4, v4                                       // 000000005F60: 7E084504
	v_rcp_f32_e32 v5, v5                                       // 000000005F64: 7E0A4505
	v_rcp_f32_e32 v6, v6                                       // 000000005F68: 7E0C4506
	v_rcp_f32_e32 v7, v7                                       // 000000005F6C: 7E0E4507
	v_mul_f32_e32 v64, v64, v4                                 // 000000005F70: 0A800940
	v_mul_f32_e32 v65, v65, v5                                 // 000000005F74: 0A820B41
	v_mul_f32_e32 v66, v66, v6                                 // 000000005F78: 0A840D42
	v_mul_f32_e32 v67, v67, v7                                 // 000000005F7C: 0A860F43
	v_mul_f32_e32 v64, v64, v112                               // 000000005F80: 0A80E140
	v_mul_f32_e32 v65, v65, v113                               // 000000005F84: 0A82E341
	v_mul_f32_e32 v66, v66, v114                               // 000000005F88: 0A84E542
	v_mul_f32_e32 v67, v67, v115                               // 000000005F8C: 0A86E743
	v_mul_f32_e64 v4, -v68, s6                                 // 000000005F90: D1050004 20000D44
	v_mul_f32_e64 v5, -v69, s6                                 // 000000005F98: D1050005 20000D45
	v_mul_f32_e64 v6, -v70, s6                                 // 000000005FA0: D1050006 20000D46
	v_mul_f32_e64 v7, -v71, s6                                 // 000000005FA8: D1050007 20000D47
	v_exp_f32_e32 v4, v4                                       // 000000005FB0: 7E084104
	v_exp_f32_e32 v5, v5                                       // 000000005FB4: 7E0A4105
	v_exp_f32_e32 v6, v6                                       // 000000005FB8: 7E0C4106
	v_exp_f32_e32 v7, v7                                       // 000000005FBC: 7E0E4107
	v_add_f32_e64 v4, v4, 1.0                                  // 000000005FC0: D1010004 0001E504
	v_add_f32_e64 v5, v5, 1.0                                  // 000000005FC8: D1010005 0001E505
	v_add_f32_e64 v6, v6, 1.0                                  // 000000005FD0: D1010006 0001E506
	v_add_f32_e64 v7, v7, 1.0                                  // 000000005FD8: D1010007 0001E507
	v_rcp_f32_e32 v4, v4                                       // 000000005FE0: 7E084504
	v_rcp_f32_e32 v5, v5                                       // 000000005FE4: 7E0A4505
	v_rcp_f32_e32 v6, v6                                       // 000000005FE8: 7E0C4506
	v_rcp_f32_e32 v7, v7                                       // 000000005FEC: 7E0E4507
	v_mul_f32_e32 v68, v68, v4                                 // 000000005FF0: 0A880944
	v_mul_f32_e32 v69, v69, v5                                 // 000000005FF4: 0A8A0B45
	v_mul_f32_e32 v70, v70, v6                                 // 000000005FF8: 0A8C0D46
	v_mul_f32_e32 v71, v71, v7                                 // 000000005FFC: 0A8E0F47
	v_mul_f32_e32 v68, v68, v116                               // 000000006000: 0A88E944
	v_mul_f32_e32 v69, v69, v117                               // 000000006004: 0A8AEB45
	v_mul_f32_e32 v70, v70, v118                               // 000000006008: 0A8CED46
	v_mul_f32_e32 v71, v71, v119                               // 00000000600C: 0A8EEF47
	v_mul_f32_e64 v4, -v72, s6                                 // 000000006010: D1050004 20000D48
	v_mul_f32_e64 v5, -v73, s6                                 // 000000006018: D1050005 20000D49
	v_mul_f32_e64 v6, -v74, s6                                 // 000000006020: D1050006 20000D4A
	v_mul_f32_e64 v7, -v75, s6                                 // 000000006028: D1050007 20000D4B
	v_exp_f32_e32 v4, v4                                       // 000000006030: 7E084104
	v_exp_f32_e32 v5, v5                                       // 000000006034: 7E0A4105
	v_exp_f32_e32 v6, v6                                       // 000000006038: 7E0C4106
	v_exp_f32_e32 v7, v7                                       // 00000000603C: 7E0E4107
	v_add_f32_e64 v4, v4, 1.0                                  // 000000006040: D1010004 0001E504
	v_add_f32_e64 v5, v5, 1.0                                  // 000000006048: D1010005 0001E505
	v_add_f32_e64 v6, v6, 1.0                                  // 000000006050: D1010006 0001E506
	v_add_f32_e64 v7, v7, 1.0                                  // 000000006058: D1010007 0001E507
	v_rcp_f32_e32 v4, v4                                       // 000000006060: 7E084504
	v_rcp_f32_e32 v5, v5                                       // 000000006064: 7E0A4505
	v_rcp_f32_e32 v6, v6                                       // 000000006068: 7E0C4506
	v_rcp_f32_e32 v7, v7                                       // 00000000606C: 7E0E4507
	v_mul_f32_e32 v72, v72, v4                                 // 000000006070: 0A900948
	v_mul_f32_e32 v73, v73, v5                                 // 000000006074: 0A920B49
	v_mul_f32_e32 v74, v74, v6                                 // 000000006078: 0A940D4A
	v_mul_f32_e32 v75, v75, v7                                 // 00000000607C: 0A960F4B
	v_mul_f32_e32 v72, v72, v120                               // 000000006080: 0A90F148
	v_mul_f32_e32 v73, v73, v121                               // 000000006084: 0A92F349
	v_mul_f32_e32 v74, v74, v122                               // 000000006088: 0A94F54A
	v_mul_f32_e32 v75, v75, v123                               // 00000000608C: 0A96F74B
	v_mul_f32_e64 v4, -v76, s6                                 // 000000006090: D1050004 20000D4C
	v_mul_f32_e64 v5, -v77, s6                                 // 000000006098: D1050005 20000D4D
	v_mul_f32_e64 v6, -v78, s6                                 // 0000000060A0: D1050006 20000D4E
	v_mul_f32_e64 v7, -v79, s6                                 // 0000000060A8: D1050007 20000D4F
	v_exp_f32_e32 v4, v4                                       // 0000000060B0: 7E084104
	v_exp_f32_e32 v5, v5                                       // 0000000060B4: 7E0A4105
	v_exp_f32_e32 v6, v6                                       // 0000000060B8: 7E0C4106
	v_exp_f32_e32 v7, v7                                       // 0000000060BC: 7E0E4107
	v_add_f32_e64 v4, v4, 1.0                                  // 0000000060C0: D1010004 0001E504
	v_add_f32_e64 v5, v5, 1.0                                  // 0000000060C8: D1010005 0001E505
	v_add_f32_e64 v6, v6, 1.0                                  // 0000000060D0: D1010006 0001E506
	v_add_f32_e64 v7, v7, 1.0                                  // 0000000060D8: D1010007 0001E507
	v_rcp_f32_e32 v4, v4                                       // 0000000060E0: 7E084504
	v_rcp_f32_e32 v5, v5                                       // 0000000060E4: 7E0A4505
	v_rcp_f32_e32 v6, v6                                       // 0000000060E8: 7E0C4506
	v_rcp_f32_e32 v7, v7                                       // 0000000060EC: 7E0E4507
	v_mul_f32_e32 v76, v76, v4                                 // 0000000060F0: 0A98094C
	v_mul_f32_e32 v77, v77, v5                                 // 0000000060F4: 0A9A0B4D
	v_mul_f32_e32 v78, v78, v6                                 // 0000000060F8: 0A9C0D4E
	v_mul_f32_e32 v79, v79, v7                                 // 0000000060FC: 0A9E0F4F
	v_mul_f32_e32 v76, v76, v124                               // 000000006100: 0A98F94C
	v_mul_f32_e32 v77, v77, v125                               // 000000006104: 0A9AFB4D
	v_mul_f32_e32 v78, v78, v126                               // 000000006108: 0A9CFD4E
	v_mul_f32_e32 v79, v79, v127                               // 00000000610C: 0A9EFF4F
	v_mul_f32_e64 v4, -v80, s6                                 // 000000006110: D1050004 20000D50
	v_mul_f32_e64 v5, -v81, s6                                 // 000000006118: D1050005 20000D51
	v_mul_f32_e64 v6, -v82, s6                                 // 000000006120: D1050006 20000D52
	v_mul_f32_e64 v7, -v83, s6                                 // 000000006128: D1050007 20000D53
	v_exp_f32_e32 v4, v4                                       // 000000006130: 7E084104
	v_exp_f32_e32 v5, v5                                       // 000000006134: 7E0A4105
	v_exp_f32_e32 v6, v6                                       // 000000006138: 7E0C4106
	v_exp_f32_e32 v7, v7                                       // 00000000613C: 7E0E4107
	v_add_f32_e64 v4, v4, 1.0                                  // 000000006140: D1010004 0001E504
	v_add_f32_e64 v5, v5, 1.0                                  // 000000006148: D1010005 0001E505
	v_add_f32_e64 v6, v6, 1.0                                  // 000000006150: D1010006 0001E506
	v_add_f32_e64 v7, v7, 1.0                                  // 000000006158: D1010007 0001E507
	v_rcp_f32_e32 v4, v4                                       // 000000006160: 7E084504
	v_rcp_f32_e32 v5, v5                                       // 000000006164: 7E0A4505
	v_rcp_f32_e32 v6, v6                                       // 000000006168: 7E0C4506
	v_rcp_f32_e32 v7, v7                                       // 00000000616C: 7E0E4507
	v_mul_f32_e32 v80, v80, v4                                 // 000000006170: 0AA00950
	v_mul_f32_e32 v81, v81, v5                                 // 000000006174: 0AA20B51
	v_mul_f32_e32 v82, v82, v6                                 // 000000006178: 0AA40D52
	v_mul_f32_e32 v83, v83, v7                                 // 00000000617C: 0AA60F53
	v_mul_f32_e32 v80, v80, v128                               // 000000006180: 0AA10150
	v_mul_f32_e32 v81, v81, v129                               // 000000006184: 0AA30351
	v_mul_f32_e32 v82, v82, v130                               // 000000006188: 0AA50552
	v_mul_f32_e32 v83, v83, v131                               // 00000000618C: 0AA70753
	v_mul_f32_e64 v4, -v84, s6                                 // 000000006190: D1050004 20000D54
	v_mul_f32_e64 v5, -v85, s6                                 // 000000006198: D1050005 20000D55
	v_mul_f32_e64 v6, -v86, s6                                 // 0000000061A0: D1050006 20000D56
	v_mul_f32_e64 v7, -v87, s6                                 // 0000000061A8: D1050007 20000D57
	v_exp_f32_e32 v4, v4                                       // 0000000061B0: 7E084104
	v_exp_f32_e32 v5, v5                                       // 0000000061B4: 7E0A4105
	v_exp_f32_e32 v6, v6                                       // 0000000061B8: 7E0C4106
	v_exp_f32_e32 v7, v7                                       // 0000000061BC: 7E0E4107
	v_add_f32_e64 v4, v4, 1.0                                  // 0000000061C0: D1010004 0001E504
	v_add_f32_e64 v5, v5, 1.0                                  // 0000000061C8: D1010005 0001E505
	v_add_f32_e64 v6, v6, 1.0                                  // 0000000061D0: D1010006 0001E506
	v_add_f32_e64 v7, v7, 1.0                                  // 0000000061D8: D1010007 0001E507
	v_rcp_f32_e32 v4, v4                                       // 0000000061E0: 7E084504
	v_rcp_f32_e32 v5, v5                                       // 0000000061E4: 7E0A4505
	v_rcp_f32_e32 v6, v6                                       // 0000000061E8: 7E0C4506
	v_rcp_f32_e32 v7, v7                                       // 0000000061EC: 7E0E4507
	v_mul_f32_e32 v84, v84, v4                                 // 0000000061F0: 0AA80954
	v_mul_f32_e32 v85, v85, v5                                 // 0000000061F4: 0AAA0B55
	v_mul_f32_e32 v86, v86, v6                                 // 0000000061F8: 0AAC0D56
	v_mul_f32_e32 v87, v87, v7                                 // 0000000061FC: 0AAE0F57
	v_mul_f32_e32 v84, v84, v132                               // 000000006200: 0AA90954
	v_mul_f32_e32 v85, v85, v133                               // 000000006204: 0AAB0B55
	v_mul_f32_e32 v86, v86, v134                               // 000000006208: 0AAD0D56
	v_mul_f32_e32 v87, v87, v135                               // 00000000620C: 0AAF0F57
	v_mul_f32_e64 v4, -v88, s6                                 // 000000006210: D1050004 20000D58
	v_mul_f32_e64 v5, -v89, s6                                 // 000000006218: D1050005 20000D59
	v_mul_f32_e64 v6, -v90, s6                                 // 000000006220: D1050006 20000D5A
	v_mul_f32_e64 v7, -v91, s6                                 // 000000006228: D1050007 20000D5B
	v_exp_f32_e32 v4, v4                                       // 000000006230: 7E084104
	v_exp_f32_e32 v5, v5                                       // 000000006234: 7E0A4105
	v_exp_f32_e32 v6, v6                                       // 000000006238: 7E0C4106
	v_exp_f32_e32 v7, v7                                       // 00000000623C: 7E0E4107
	v_add_f32_e64 v4, v4, 1.0                                  // 000000006240: D1010004 0001E504
	v_add_f32_e64 v5, v5, 1.0                                  // 000000006248: D1010005 0001E505
	v_add_f32_e64 v6, v6, 1.0                                  // 000000006250: D1010006 0001E506
	v_add_f32_e64 v7, v7, 1.0                                  // 000000006258: D1010007 0001E507
	v_rcp_f32_e32 v4, v4                                       // 000000006260: 7E084504
	v_rcp_f32_e32 v5, v5                                       // 000000006264: 7E0A4505
	v_rcp_f32_e32 v6, v6                                       // 000000006268: 7E0C4506
	v_rcp_f32_e32 v7, v7                                       // 00000000626C: 7E0E4507
	v_mul_f32_e32 v88, v88, v4                                 // 000000006270: 0AB00958
	v_mul_f32_e32 v89, v89, v5                                 // 000000006274: 0AB20B59
	v_mul_f32_e32 v90, v90, v6                                 // 000000006278: 0AB40D5A
	v_mul_f32_e32 v91, v91, v7                                 // 00000000627C: 0AB60F5B
	v_mul_f32_e32 v88, v88, v136                               // 000000006280: 0AB11158
	v_mul_f32_e32 v89, v89, v137                               // 000000006284: 0AB31359
	v_mul_f32_e32 v90, v90, v138                               // 000000006288: 0AB5155A
	v_mul_f32_e32 v91, v91, v139                               // 00000000628C: 0AB7175B
	v_mul_f32_e64 v4, -v92, s6                                 // 000000006290: D1050004 20000D5C
	v_mul_f32_e64 v5, -v93, s6                                 // 000000006298: D1050005 20000D5D
	v_mul_f32_e64 v6, -v94, s6                                 // 0000000062A0: D1050006 20000D5E
	v_mul_f32_e64 v7, -v95, s6                                 // 0000000062A8: D1050007 20000D5F
	v_exp_f32_e32 v4, v4                                       // 0000000062B0: 7E084104
	v_exp_f32_e32 v5, v5                                       // 0000000062B4: 7E0A4105
	v_exp_f32_e32 v6, v6                                       // 0000000062B8: 7E0C4106
	v_exp_f32_e32 v7, v7                                       // 0000000062BC: 7E0E4107
	v_add_f32_e64 v4, v4, 1.0                                  // 0000000062C0: D1010004 0001E504
	v_add_f32_e64 v5, v5, 1.0                                  // 0000000062C8: D1010005 0001E505
	v_add_f32_e64 v6, v6, 1.0                                  // 0000000062D0: D1010006 0001E506
	v_add_f32_e64 v7, v7, 1.0                                  // 0000000062D8: D1010007 0001E507
	v_rcp_f32_e32 v4, v4                                       // 0000000062E0: 7E084504
	v_rcp_f32_e32 v5, v5                                       // 0000000062E4: 7E0A4505
	v_rcp_f32_e32 v6, v6                                       // 0000000062E8: 7E0C4506
	v_rcp_f32_e32 v7, v7                                       // 0000000062EC: 7E0E4507
	v_mul_f32_e32 v92, v92, v4                                 // 0000000062F0: 0AB8095C
	v_mul_f32_e32 v93, v93, v5                                 // 0000000062F4: 0ABA0B5D
	v_mul_f32_e32 v94, v94, v6                                 // 0000000062F8: 0ABC0D5E
	v_mul_f32_e32 v95, v95, v7                                 // 0000000062FC: 0ABE0F5F
	v_mul_f32_e32 v92, v92, v140                               // 000000006300: 0AB9195C
	v_mul_f32_e32 v93, v93, v141                               // 000000006304: 0ABB1B5D
	v_mul_f32_e32 v94, v94, v142                               // 000000006308: 0ABD1D5E
	v_mul_f32_e32 v95, v95, v143                               // 00000000630C: 0ABF1F5F
	v_mul_f32_e64 v4, -v96, s6                                 // 000000006310: D1050004 20000D60
	v_mul_f32_e64 v5, -v97, s6                                 // 000000006318: D1050005 20000D61
	v_mul_f32_e64 v6, -v98, s6                                 // 000000006320: D1050006 20000D62
	v_mul_f32_e64 v7, -v99, s6                                 // 000000006328: D1050007 20000D63
	v_exp_f32_e32 v4, v4                                       // 000000006330: 7E084104
	v_exp_f32_e32 v5, v5                                       // 000000006334: 7E0A4105
	v_exp_f32_e32 v6, v6                                       // 000000006338: 7E0C4106
	v_exp_f32_e32 v7, v7                                       // 00000000633C: 7E0E4107
	v_add_f32_e64 v4, v4, 1.0                                  // 000000006340: D1010004 0001E504
	v_add_f32_e64 v5, v5, 1.0                                  // 000000006348: D1010005 0001E505
	v_add_f32_e64 v6, v6, 1.0                                  // 000000006350: D1010006 0001E506
	v_add_f32_e64 v7, v7, 1.0                                  // 000000006358: D1010007 0001E507
	v_rcp_f32_e32 v4, v4                                       // 000000006360: 7E084504
	v_rcp_f32_e32 v5, v5                                       // 000000006364: 7E0A4505
	v_rcp_f32_e32 v6, v6                                       // 000000006368: 7E0C4506
	v_rcp_f32_e32 v7, v7                                       // 00000000636C: 7E0E4507
	v_mul_f32_e32 v96, v96, v4                                 // 000000006370: 0AC00960
	v_mul_f32_e32 v97, v97, v5                                 // 000000006374: 0AC20B61
	v_mul_f32_e32 v98, v98, v6                                 // 000000006378: 0AC40D62
	v_mul_f32_e32 v99, v99, v7                                 // 00000000637C: 0AC60F63
	v_mul_f32_e32 v96, v96, v144                               // 000000006380: 0AC12160
	v_mul_f32_e32 v97, v97, v145                               // 000000006384: 0AC32361
	v_mul_f32_e32 v98, v98, v146                               // 000000006388: 0AC52562
	v_mul_f32_e32 v99, v99, v147                               // 00000000638C: 0AC72763

0000000000006390 <label_0DE4>:
	v_cmp_u_f32_e64 s[46:47], v52, v52                         // 000000006390: D048002E 00026934
	v_add3_u32 v16, v52, v19, 1                                // 000000006398: D1FF0010 02062734
	v_cndmask_b32_e64 v4, v16, v18, s[46:47]                   // 0000000063A0: D1000004 00BA2510
	v_cmp_u_f32_e64 s[46:47], v53, v53                         // 0000000063A8: D048002E 00026B35
	v_add3_u32 v16, v53, v19, 1                                // 0000000063B0: D1FF0010 02062735
	v_cndmask_b32_e64 v5, v16, v18, s[46:47]                   // 0000000063B8: D1000005 00BA2510
	v_perm_b32 v52, v5, v4, s52                                // 0000000063C0: D1ED0034 00D20905
	v_cmp_u_f32_e64 s[46:47], v54, v54                         // 0000000063C8: D048002E 00026D36
	v_add3_u32 v16, v54, v19, 1                                // 0000000063D0: D1FF0010 02062736
	v_cndmask_b32_e64 v4, v16, v18, s[46:47]                   // 0000000063D8: D1000004 00BA2510
	v_cmp_u_f32_e64 s[46:47], v55, v55                         // 0000000063E0: D048002E 00026F37
	v_add3_u32 v16, v55, v19, 1                                // 0000000063E8: D1FF0010 02062737
	v_cndmask_b32_e64 v5, v16, v18, s[46:47]                   // 0000000063F0: D1000005 00BA2510
	v_perm_b32 v53, v5, v4, s52                                // 0000000063F8: D1ED0035 00D20905
	v_cmp_u_f32_e64 s[46:47], v56, v56                         // 000000006400: D048002E 00027138
	v_add3_u32 v16, v56, v19, 1                                // 000000006408: D1FF0010 02062738
	v_cndmask_b32_e64 v4, v16, v18, s[46:47]                   // 000000006410: D1000004 00BA2510
	v_cmp_u_f32_e64 s[46:47], v57, v57                         // 000000006418: D048002E 00027339
	v_add3_u32 v16, v57, v19, 1                                // 000000006420: D1FF0010 02062739
	v_cndmask_b32_e64 v5, v16, v18, s[46:47]                   // 000000006428: D1000005 00BA2510
	v_perm_b32 v54, v5, v4, s52                                // 000000006430: D1ED0036 00D20905
	v_cmp_u_f32_e64 s[46:47], v58, v58                         // 000000006438: D048002E 0002753A
	v_add3_u32 v16, v58, v19, 1                                // 000000006440: D1FF0010 0206273A
	v_cndmask_b32_e64 v4, v16, v18, s[46:47]                   // 000000006448: D1000004 00BA2510
	v_cmp_u_f32_e64 s[46:47], v59, v59                         // 000000006450: D048002E 0002773B
	v_add3_u32 v16, v59, v19, 1                                // 000000006458: D1FF0010 0206273B
	v_cndmask_b32_e64 v5, v16, v18, s[46:47]                   // 000000006460: D1000005 00BA2510
	v_perm_b32 v55, v5, v4, s52                                // 000000006468: D1ED0037 00D20905
	v_cmp_u_f32_e64 s[46:47], v60, v60                         // 000000006470: D048002E 0002793C
	v_add3_u32 v16, v60, v19, 1                                // 000000006478: D1FF0010 0206273C
	v_cndmask_b32_e64 v4, v16, v18, s[46:47]                   // 000000006480: D1000004 00BA2510
	v_cmp_u_f32_e64 s[46:47], v61, v61                         // 000000006488: D048002E 00027B3D
	v_add3_u32 v16, v61, v19, 1                                // 000000006490: D1FF0010 0206273D
	v_cndmask_b32_e64 v5, v16, v18, s[46:47]                   // 000000006498: D1000005 00BA2510
	v_perm_b32 v56, v5, v4, s52                                // 0000000064A0: D1ED0038 00D20905
	v_cmp_u_f32_e64 s[46:47], v62, v62                         // 0000000064A8: D048002E 00027D3E
	v_add3_u32 v16, v62, v19, 1                                // 0000000064B0: D1FF0010 0206273E
	v_cndmask_b32_e64 v4, v16, v18, s[46:47]                   // 0000000064B8: D1000004 00BA2510
	v_cmp_u_f32_e64 s[46:47], v63, v63                         // 0000000064C0: D048002E 00027F3F
	v_add3_u32 v16, v63, v19, 1                                // 0000000064C8: D1FF0010 0206273F
	v_cndmask_b32_e64 v5, v16, v18, s[46:47]                   // 0000000064D0: D1000005 00BA2510
	v_perm_b32 v57, v5, v4, s52                                // 0000000064D8: D1ED0039 00D20905
	v_cmp_u_f32_e64 s[46:47], v64, v64                         // 0000000064E0: D048002E 00028140
	v_add3_u32 v16, v64, v19, 1                                // 0000000064E8: D1FF0010 02062740
	v_cndmask_b32_e64 v4, v16, v18, s[46:47]                   // 0000000064F0: D1000004 00BA2510
	v_cmp_u_f32_e64 s[46:47], v65, v65                         // 0000000064F8: D048002E 00028341
	v_add3_u32 v16, v65, v19, 1                                // 000000006500: D1FF0010 02062741
	v_cndmask_b32_e64 v5, v16, v18, s[46:47]                   // 000000006508: D1000005 00BA2510
	v_perm_b32 v58, v5, v4, s52                                // 000000006510: D1ED003A 00D20905
	v_cmp_u_f32_e64 s[46:47], v66, v66                         // 000000006518: D048002E 00028542
	v_add3_u32 v16, v66, v19, 1                                // 000000006520: D1FF0010 02062742
	v_cndmask_b32_e64 v4, v16, v18, s[46:47]                   // 000000006528: D1000004 00BA2510
	v_cmp_u_f32_e64 s[46:47], v67, v67                         // 000000006530: D048002E 00028743
	v_add3_u32 v16, v67, v19, 1                                // 000000006538: D1FF0010 02062743
	v_cndmask_b32_e64 v5, v16, v18, s[46:47]                   // 000000006540: D1000005 00BA2510
	v_perm_b32 v59, v5, v4, s52                                // 000000006548: D1ED003B 00D20905
	v_cmp_u_f32_e64 s[46:47], v68, v68                         // 000000006550: D048002E 00028944
	v_add3_u32 v16, v68, v19, 1                                // 000000006558: D1FF0010 02062744
	v_cndmask_b32_e64 v4, v16, v18, s[46:47]                   // 000000006560: D1000004 00BA2510
	v_cmp_u_f32_e64 s[46:47], v69, v69                         // 000000006568: D048002E 00028B45
	v_add3_u32 v16, v69, v19, 1                                // 000000006570: D1FF0010 02062745
	v_cndmask_b32_e64 v5, v16, v18, s[46:47]                   // 000000006578: D1000005 00BA2510
	v_perm_b32 v60, v5, v4, s52                                // 000000006580: D1ED003C 00D20905
	v_cmp_u_f32_e64 s[46:47], v70, v70                         // 000000006588: D048002E 00028D46
	v_add3_u32 v16, v70, v19, 1                                // 000000006590: D1FF0010 02062746
	v_cndmask_b32_e64 v4, v16, v18, s[46:47]                   // 000000006598: D1000004 00BA2510
	v_cmp_u_f32_e64 s[46:47], v71, v71                         // 0000000065A0: D048002E 00028F47
	v_add3_u32 v16, v71, v19, 1                                // 0000000065A8: D1FF0010 02062747
	v_cndmask_b32_e64 v5, v16, v18, s[46:47]                   // 0000000065B0: D1000005 00BA2510
	v_perm_b32 v61, v5, v4, s52                                // 0000000065B8: D1ED003D 00D20905
	v_cmp_u_f32_e64 s[46:47], v72, v72                         // 0000000065C0: D048002E 00029148
	v_add3_u32 v16, v72, v19, 1                                // 0000000065C8: D1FF0010 02062748
	v_cndmask_b32_e64 v4, v16, v18, s[46:47]                   // 0000000065D0: D1000004 00BA2510
	v_cmp_u_f32_e64 s[46:47], v73, v73                         // 0000000065D8: D048002E 00029349
	v_add3_u32 v16, v73, v19, 1                                // 0000000065E0: D1FF0010 02062749
	v_cndmask_b32_e64 v5, v16, v18, s[46:47]                   // 0000000065E8: D1000005 00BA2510
	v_perm_b32 v62, v5, v4, s52                                // 0000000065F0: D1ED003E 00D20905
	v_cmp_u_f32_e64 s[46:47], v74, v74                         // 0000000065F8: D048002E 0002954A
	v_add3_u32 v16, v74, v19, 1                                // 000000006600: D1FF0010 0206274A
	v_cndmask_b32_e64 v4, v16, v18, s[46:47]                   // 000000006608: D1000004 00BA2510
	v_cmp_u_f32_e64 s[46:47], v75, v75                         // 000000006610: D048002E 0002974B
	v_add3_u32 v16, v75, v19, 1                                // 000000006618: D1FF0010 0206274B
	v_cndmask_b32_e64 v5, v16, v18, s[46:47]                   // 000000006620: D1000005 00BA2510
	v_perm_b32 v63, v5, v4, s52                                // 000000006628: D1ED003F 00D20905
	v_cmp_u_f32_e64 s[46:47], v76, v76                         // 000000006630: D048002E 0002994C
	v_add3_u32 v16, v76, v19, 1                                // 000000006638: D1FF0010 0206274C
	v_cndmask_b32_e64 v4, v16, v18, s[46:47]                   // 000000006640: D1000004 00BA2510
	v_cmp_u_f32_e64 s[46:47], v77, v77                         // 000000006648: D048002E 00029B4D
	v_add3_u32 v16, v77, v19, 1                                // 000000006650: D1FF0010 0206274D
	v_cndmask_b32_e64 v5, v16, v18, s[46:47]                   // 000000006658: D1000005 00BA2510
	v_perm_b32 v64, v5, v4, s52                                // 000000006660: D1ED0040 00D20905
	v_cmp_u_f32_e64 s[46:47], v78, v78                         // 000000006668: D048002E 00029D4E
	v_add3_u32 v16, v78, v19, 1                                // 000000006670: D1FF0010 0206274E
	v_cndmask_b32_e64 v4, v16, v18, s[46:47]                   // 000000006678: D1000004 00BA2510
	v_cmp_u_f32_e64 s[46:47], v79, v79                         // 000000006680: D048002E 00029F4F
	v_add3_u32 v16, v79, v19, 1                                // 000000006688: D1FF0010 0206274F
	v_cndmask_b32_e64 v5, v16, v18, s[46:47]                   // 000000006690: D1000005 00BA2510
	v_perm_b32 v65, v5, v4, s52                                // 000000006698: D1ED0041 00D20905
	v_cmp_u_f32_e64 s[46:47], v80, v80                         // 0000000066A0: D048002E 0002A150
	v_add3_u32 v16, v80, v19, 1                                // 0000000066A8: D1FF0010 02062750
	v_cndmask_b32_e64 v4, v16, v18, s[46:47]                   // 0000000066B0: D1000004 00BA2510
	v_cmp_u_f32_e64 s[46:47], v81, v81                         // 0000000066B8: D048002E 0002A351
	v_add3_u32 v16, v81, v19, 1                                // 0000000066C0: D1FF0010 02062751
	v_cndmask_b32_e64 v5, v16, v18, s[46:47]                   // 0000000066C8: D1000005 00BA2510
	v_perm_b32 v66, v5, v4, s52                                // 0000000066D0: D1ED0042 00D20905
	v_cmp_u_f32_e64 s[46:47], v82, v82                         // 0000000066D8: D048002E 0002A552
	v_add3_u32 v16, v82, v19, 1                                // 0000000066E0: D1FF0010 02062752
	v_cndmask_b32_e64 v4, v16, v18, s[46:47]                   // 0000000066E8: D1000004 00BA2510
	v_cmp_u_f32_e64 s[46:47], v83, v83                         // 0000000066F0: D048002E 0002A753
	v_add3_u32 v16, v83, v19, 1                                // 0000000066F8: D1FF0010 02062753
	v_cndmask_b32_e64 v5, v16, v18, s[46:47]                   // 000000006700: D1000005 00BA2510
	v_perm_b32 v67, v5, v4, s52                                // 000000006708: D1ED0043 00D20905
	v_cmp_u_f32_e64 s[46:47], v84, v84                         // 000000006710: D048002E 0002A954
	v_add3_u32 v16, v84, v19, 1                                // 000000006718: D1FF0010 02062754
	v_cndmask_b32_e64 v4, v16, v18, s[46:47]                   // 000000006720: D1000004 00BA2510
	v_cmp_u_f32_e64 s[46:47], v85, v85                         // 000000006728: D048002E 0002AB55
	v_add3_u32 v16, v85, v19, 1                                // 000000006730: D1FF0010 02062755
	v_cndmask_b32_e64 v5, v16, v18, s[46:47]                   // 000000006738: D1000005 00BA2510
	v_perm_b32 v68, v5, v4, s52                                // 000000006740: D1ED0044 00D20905
	v_cmp_u_f32_e64 s[46:47], v86, v86                         // 000000006748: D048002E 0002AD56
	v_add3_u32 v16, v86, v19, 1                                // 000000006750: D1FF0010 02062756
	v_cndmask_b32_e64 v4, v16, v18, s[46:47]                   // 000000006758: D1000004 00BA2510
	v_cmp_u_f32_e64 s[46:47], v87, v87                         // 000000006760: D048002E 0002AF57
	v_add3_u32 v16, v87, v19, 1                                // 000000006768: D1FF0010 02062757
	v_cndmask_b32_e64 v5, v16, v18, s[46:47]                   // 000000006770: D1000005 00BA2510
	v_perm_b32 v69, v5, v4, s52                                // 000000006778: D1ED0045 00D20905
	v_cmp_u_f32_e64 s[46:47], v88, v88                         // 000000006780: D048002E 0002B158
	v_add3_u32 v16, v88, v19, 1                                // 000000006788: D1FF0010 02062758
	v_cndmask_b32_e64 v4, v16, v18, s[46:47]                   // 000000006790: D1000004 00BA2510
	v_cmp_u_f32_e64 s[46:47], v89, v89                         // 000000006798: D048002E 0002B359
	v_add3_u32 v16, v89, v19, 1                                // 0000000067A0: D1FF0010 02062759
	v_cndmask_b32_e64 v5, v16, v18, s[46:47]                   // 0000000067A8: D1000005 00BA2510
	v_perm_b32 v70, v5, v4, s52                                // 0000000067B0: D1ED0046 00D20905
	v_cmp_u_f32_e64 s[46:47], v90, v90                         // 0000000067B8: D048002E 0002B55A
	v_add3_u32 v16, v90, v19, 1                                // 0000000067C0: D1FF0010 0206275A
	v_cndmask_b32_e64 v4, v16, v18, s[46:47]                   // 0000000067C8: D1000004 00BA2510
	v_cmp_u_f32_e64 s[46:47], v91, v91                         // 0000000067D0: D048002E 0002B75B
	v_add3_u32 v16, v91, v19, 1                                // 0000000067D8: D1FF0010 0206275B
	v_cndmask_b32_e64 v5, v16, v18, s[46:47]                   // 0000000067E0: D1000005 00BA2510
	v_perm_b32 v71, v5, v4, s52                                // 0000000067E8: D1ED0047 00D20905
	v_cmp_u_f32_e64 s[46:47], v92, v92                         // 0000000067F0: D048002E 0002B95C
	v_add3_u32 v16, v92, v19, 1                                // 0000000067F8: D1FF0010 0206275C
	v_cndmask_b32_e64 v4, v16, v18, s[46:47]                   // 000000006800: D1000004 00BA2510
	v_cmp_u_f32_e64 s[46:47], v93, v93                         // 000000006808: D048002E 0002BB5D
	v_add3_u32 v16, v93, v19, 1                                // 000000006810: D1FF0010 0206275D
	v_cndmask_b32_e64 v5, v16, v18, s[46:47]                   // 000000006818: D1000005 00BA2510
	v_perm_b32 v72, v5, v4, s52                                // 000000006820: D1ED0048 00D20905
	v_cmp_u_f32_e64 s[46:47], v94, v94                         // 000000006828: D048002E 0002BD5E
	v_add3_u32 v16, v94, v19, 1                                // 000000006830: D1FF0010 0206275E
	v_cndmask_b32_e64 v4, v16, v18, s[46:47]                   // 000000006838: D1000004 00BA2510
	v_cmp_u_f32_e64 s[46:47], v95, v95                         // 000000006840: D048002E 0002BF5F
	v_add3_u32 v16, v95, v19, 1                                // 000000006848: D1FF0010 0206275F
	v_cndmask_b32_e64 v5, v16, v18, s[46:47]                   // 000000006850: D1000005 00BA2510
	v_perm_b32 v73, v5, v4, s52                                // 000000006858: D1ED0049 00D20905
	v_cmp_u_f32_e64 s[46:47], v96, v96                         // 000000006860: D048002E 0002C160
	v_add3_u32 v16, v96, v19, 1                                // 000000006868: D1FF0010 02062760
	v_cndmask_b32_e64 v4, v16, v18, s[46:47]                   // 000000006870: D1000004 00BA2510
	v_cmp_u_f32_e64 s[46:47], v97, v97                         // 000000006878: D048002E 0002C361
	v_add3_u32 v16, v97, v19, 1                                // 000000006880: D1FF0010 02062761
	v_cndmask_b32_e64 v5, v16, v18, s[46:47]                   // 000000006888: D1000005 00BA2510
	v_perm_b32 v74, v5, v4, s52                                // 000000006890: D1ED004A 00D20905
	v_cmp_u_f32_e64 s[46:47], v98, v98                         // 000000006898: D048002E 0002C562
	v_add3_u32 v16, v98, v19, 1                                // 0000000068A0: D1FF0010 02062762
	v_cndmask_b32_e64 v4, v16, v18, s[46:47]                   // 0000000068A8: D1000004 00BA2510
	v_cmp_u_f32_e64 s[46:47], v99, v99                         // 0000000068B0: D048002E 0002C763
	v_add3_u32 v16, v99, v19, 1                                // 0000000068B8: D1FF0010 02062763
	v_cndmask_b32_e64 v5, v16, v18, s[46:47]                   // 0000000068C0: D1000005 00BA2510
	v_perm_b32 v75, v5, v4, s52                                // 0000000068C8: D1ED004B 00D20905
	ds_write_b64 v20, v[52:53]                                 // 0000000068D0: D89A0000 00003414
	ds_write_b64 v20, v[54:55] offset:13056                    // 0000000068D8: D89A3300 00003614
	ds_write_b64 v20, v[56:57] offset:2176                     // 0000000068E0: D89A0880 00003814
	ds_write_b64 v20, v[58:59] offset:15232                    // 0000000068E8: D89A3B80 00003A14
	ds_write_b64 v20, v[60:61] offset:4352                     // 0000000068F0: D89A1100 00003C14
	ds_write_b64 v20, v[62:63] offset:17408                    // 0000000068F8: D89A4400 00003E14
	ds_write_b64 v20, v[64:65] offset:6528                     // 000000006900: D89A1980 00004014
	ds_write_b64 v20, v[66:67] offset:19584                    // 000000006908: D89A4C80 00004214
	ds_write_b64 v20, v[68:69] offset:8704                     // 000000006910: D89A2200 00004414
	ds_write_b64 v20, v[70:71] offset:21760                    // 000000006918: D89A5500 00004614
	ds_write_b64 v20, v[72:73] offset:10880                    // 000000006920: D89A2A80 00004814
	ds_write_b64 v20, v[74:75] offset:23936                    // 000000006928: D89A5D80 00004A14
	v_lshrrev_b32_e32 v4, 5, v0                                // 000000006930: 20080085
	v_xor_b32_e32 v5, 1, v4                                    // 000000006934: 2A0A0881
	s_mul_i32 s60, s65, 2                                      // 000000006938: 923C8241
	s_cmp_eq_u32 s88, 0                                        // 00000000693C: BF068058
	s_cselect_b32 s61, 1, 4                                    // 000000006940: 853D8481
	s_mul_i32 s60, s61, s60                                    // 000000006944: 923C3C3D
	v_readlane_b32 s82, v3, 0                                  // 000000006948: D2890052 00010103
	s_lshr_b32 s61, s82, 24                                    // 000000006950: 8F3D9852
	s_and_b32 s82, s82, 0xffffff                               // 000000006954: 8652FF52 00FFFFFF
	s_mul_i32 s82, s82, s71                                    // 00000000695C: 92524752
	s_mul_i32 s61, s60, s61                                    // 000000006960: 923D3D3C
	s_add_u32 s82, s82, s61                                    // 000000006964: 80523D52
	v_mul_lo_u32 v6, v5, s82                                   // 000000006968: D2850006 0000A505
	v_readlane_b32 s82, v3, 1                                  // 000000006970: D2890052 00010303
	s_lshr_b32 s61, s82, 24                                    // 000000006978: 8F3D9852
	s_and_b32 s82, s82, 0xffffff                               // 00000000697C: 8652FF52 00FFFFFF
	s_mul_i32 s82, s82, s71                                    // 000000006984: 92524752
	s_mul_i32 s61, s60, s61                                    // 000000006988: 923D3D3C
	s_add_u32 s82, s82, s61                                    // 00000000698C: 80523D52
	v_mul_lo_u32 v7, v4, s82                                   // 000000006990: D2850007 0000A504
	v_add_u32_e32 v39, v6, v7                                  // 000000006998: 684E0F06
	v_readlane_b32 s82, v3, 2                                  // 00000000699C: D2890052 00010503
	s_lshr_b32 s61, s82, 24                                    // 0000000069A4: 8F3D9852
	s_and_b32 s82, s82, 0xffffff                               // 0000000069A8: 8652FF52 00FFFFFF
	s_mul_i32 s82, s82, s71                                    // 0000000069B0: 92524752
	s_mul_i32 s61, s60, s61                                    // 0000000069B4: 923D3D3C
	s_add_u32 s82, s82, s61                                    // 0000000069B8: 80523D52
	v_mul_lo_u32 v6, v5, s82                                   // 0000000069BC: D2850006 0000A505
	v_readlane_b32 s82, v3, 3                                  // 0000000069C4: D2890052 00010703
	s_lshr_b32 s61, s82, 24                                    // 0000000069CC: 8F3D9852
	s_and_b32 s82, s82, 0xffffff                               // 0000000069D0: 8652FF52 00FFFFFF
	s_mul_i32 s82, s82, s71                                    // 0000000069D8: 92524752
	s_mul_i32 s61, s60, s61                                    // 0000000069DC: 923D3D3C
	s_add_u32 s82, s82, s61                                    // 0000000069E0: 80523D52
	v_mul_lo_u32 v7, v4, s82                                   // 0000000069E4: D2850007 0000A504
	v_add_u32_e32 v40, v6, v7                                  // 0000000069EC: 68500F06
	v_readlane_b32 s82, v3, 4                                  // 0000000069F0: D2890052 00010903
	s_lshr_b32 s61, s82, 24                                    // 0000000069F8: 8F3D9852
	s_and_b32 s82, s82, 0xffffff                               // 0000000069FC: 8652FF52 00FFFFFF
	s_mul_i32 s82, s82, s71                                    // 000000006A04: 92524752
	s_mul_i32 s61, s60, s61                                    // 000000006A08: 923D3D3C
	s_add_u32 s82, s82, s61                                    // 000000006A0C: 80523D52
	v_mul_lo_u32 v6, v5, s82                                   // 000000006A10: D2850006 0000A505
	v_readlane_b32 s82, v3, 5                                  // 000000006A18: D2890052 00010B03
	s_lshr_b32 s61, s82, 24                                    // 000000006A20: 8F3D9852
	s_and_b32 s82, s82, 0xffffff                               // 000000006A24: 8652FF52 00FFFFFF
	s_mul_i32 s82, s82, s71                                    // 000000006A2C: 92524752
	s_mul_i32 s61, s60, s61                                    // 000000006A30: 923D3D3C
	s_add_u32 s82, s82, s61                                    // 000000006A34: 80523D52
	v_mul_lo_u32 v7, v4, s82                                   // 000000006A38: D2850007 0000A504
	v_add_u32_e32 v41, v6, v7                                  // 000000006A40: 68520F06
	v_readlane_b32 s82, v3, 6                                  // 000000006A44: D2890052 00010D03
	s_lshr_b32 s61, s82, 24                                    // 000000006A4C: 8F3D9852
	s_and_b32 s82, s82, 0xffffff                               // 000000006A50: 8652FF52 00FFFFFF
	s_mul_i32 s82, s82, s71                                    // 000000006A58: 92524752
	s_mul_i32 s61, s60, s61                                    // 000000006A5C: 923D3D3C
	s_add_u32 s82, s82, s61                                    // 000000006A60: 80523D52
	v_mul_lo_u32 v6, v5, s82                                   // 000000006A64: D2850006 0000A505
	v_readlane_b32 s82, v3, 7                                  // 000000006A6C: D2890052 00010F03
	s_lshr_b32 s61, s82, 24                                    // 000000006A74: 8F3D9852
	s_and_b32 s82, s82, 0xffffff                               // 000000006A78: 8652FF52 00FFFFFF
	s_mul_i32 s82, s82, s71                                    // 000000006A80: 92524752
	s_mul_i32 s61, s60, s61                                    // 000000006A84: 923D3D3C
	s_add_u32 s82, s82, s61                                    // 000000006A88: 80523D52
	v_mul_lo_u32 v7, v4, s82                                   // 000000006A8C: D2850007 0000A504
	v_add_u32_e32 v42, v6, v7                                  // 000000006A94: 68540F06
	v_and_b32_e32 v4, 31, v0                                   // 000000006A98: 2608009F
	v_lshrrev_b32_e32 v4, 1, v4                                // 000000006A9C: 20080881
	s_cmp_eq_u32 s88, 0                                        // 000000006AA0: BF068058
	s_cselect_b32 s61, 2, 4                                    // 000000006AA4: 853D8482
	v_mul_lo_u32 v4, v4, s61                                   // 000000006AA8: D2850004 00007B04
	v_and_b32_e64 v5, v0, 1                                    // 000000006AB0: D1130005 00010300
	v_add_u32_e32 v4, v4, v5                                   // 000000006AB8: 68080B04
	v_lshlrev_b32_e32 v4, 2, v4                                // 000000006ABC: 24080882
	v_add_u32_e32 v39, v39, v4                                 // 000000006AC0: 684E0927
	v_add_u32_e32 v40, v40, v4                                 // 000000006AC4: 68500928
	v_add_u32_e32 v41, v41, v4                                 // 000000006AC8: 68520929
	v_add_u32_e32 v42, v42, v4                                 // 000000006ACC: 6854092A
	s_waitcnt lgkmcnt(0)                                       // 000000006AD0: BF8CC07F
	s_barrier                                                  // 000000006AD4: BF8A0000
	ds_read_b32 v52, v21                                       // 000000006AD8: D86C0000 34000015
	ds_read_b32 v53, v21 offset:64                             // 000000006AE0: D86C0040 35000015
	ds_read_b32 v54, v21 offset:2176                           // 000000006AE8: D86C0880 36000015
	ds_read_b32 v55, v21 offset:2240                           // 000000006AF0: D86C08C0 37000015
	ds_read_b32 v56, v21 offset:4352                           // 000000006AF8: D86C1100 38000015
	ds_read_b32 v57, v21 offset:4416                           // 000000006B00: D86C1140 39000015
	ds_read_b32 v58, v21 offset:6528                           // 000000006B08: D86C1980 3A000015
	ds_read_b32 v59, v21 offset:6592                           // 000000006B10: D86C19C0 3B000015
	ds_read_b32 v60, v21 offset:8704                           // 000000006B18: D86C2200 3C000015
	ds_read_b32 v61, v21 offset:8768                           // 000000006B20: D86C2240 3D000015
	ds_read_b32 v62, v21 offset:10880                          // 000000006B28: D86C2A80 3E000015
	ds_read_b32 v63, v21 offset:10944                          // 000000006B30: D86C2AC0 3F000015
	ds_read_b32 v64, v21 offset:13056                          // 000000006B38: D86C3300 40000015
	ds_read_b32 v65, v21 offset:13120                          // 000000006B40: D86C3340 41000015
	ds_read_b32 v66, v21 offset:15232                          // 000000006B48: D86C3B80 42000015
	ds_read_b32 v67, v21 offset:15296                          // 000000006B50: D86C3BC0 43000015
	ds_read_b32 v68, v21 offset:17408                          // 000000006B58: D86C4400 44000015
	ds_read_b32 v69, v21 offset:17472                          // 000000006B60: D86C4440 45000015
	ds_read_b32 v70, v21 offset:19584                          // 000000006B68: D86C4C80 46000015
	ds_read_b32 v71, v21 offset:19648                          // 000000006B70: D86C4CC0 47000015
	ds_read_b32 v72, v21 offset:21760                          // 000000006B78: D86C5500 48000015
	ds_read_b32 v73, v21 offset:21824                          // 000000006B80: D86C5540 49000015
	ds_read_b32 v74, v21 offset:23936                          // 000000006B88: D86C5D80 4A000015
	ds_read_b32 v75, v21 offset:24000                          // 000000006B90: D86C5DC0 4B000015
	s_waitcnt lgkmcnt(0)                                       // 000000006B98: BF8CC07F
	s_mov_b32 s36, -1                                          // 000000006B9C: BEA400C1
	s_mov_b32 s37, -1                                          // 000000006BA0: BEA500C1
	v_mov_b32_e32 v7, 0                                        // 000000006BA4: 7E0E0280
	s_or_b32 s9, s9, 0x40000                                   // 000000006BA8: 8709FF09 00040000
	s_mov_b64 exec, s[36:37]                                   // 000000006BB0: BEFE0124
	v_mov_b32_e32 v6, v39                                      // 000000006BB4: 7E0C0327
	s_mov_b64 s[60:61], 0                                      // 000000006BB8: BEBC0180
	v_readlane_b32 s82, v3, 0                                  // 000000006BBC: D2890052 00010103
	s_and_b32 s82, s82, 0xffffff                               // 000000006BC4: 8652FF52 00FFFFFF
	s_cmp_lt_u32 s82, s66                                      // 000000006BCC: BF0A4252
	s_cselect_b32 s20, s36, s60                                // 000000006BD0: 85143C24
	v_readlane_b32 s82, v3, 1                                  // 000000006BD4: D2890052 00010303
	s_and_b32 s82, s82, 0xffffff                               // 000000006BDC: 8652FF52 00FFFFFF
	s_cmp_lt_u32 s82, s66                                      // 000000006BE4: BF0A4252
	s_cselect_b32 s21, s36, s60                                // 000000006BE8: 85153C24
	s_mov_b64 exec, s[20:21]                                   // 000000006BEC: BEFE0114
	buffer_store_dword v52, v6, s[8:11], 0 offen               // 000000006BF0: E0701000 80023406
	buffer_store_dword v54, v6, s[8:11], 0 offen offset:128    // 000000006BF8: E0701080 80023606
	buffer_store_dword v56, v6, s[8:11], 0 offen offset:256    // 000000006C00: E0701100 80023806
	buffer_store_dword v58, v6, s[8:11], 0 offen offset:384    // 000000006C08: E0701180 80023A06
	buffer_store_dword v60, v6, s[8:11], 0 offen offset:512    // 000000006C10: E0701200 80023C06
	buffer_store_dword v62, v6, s[8:11], 0 offen offset:640    // 000000006C18: E0701280 80023E06
	s_mov_b64 exec, s[36:37]                                   // 000000006C20: BEFE0124
	v_mov_b32_e32 v6, v40                                      // 000000006C24: 7E0C0328
	s_mov_b64 s[60:61], 0                                      // 000000006C28: BEBC0180
	v_readlane_b32 s82, v3, 2                                  // 000000006C2C: D2890052 00010503
	s_and_b32 s82, s82, 0xffffff                               // 000000006C34: 8652FF52 00FFFFFF
	s_cmp_lt_u32 s82, s66                                      // 000000006C3C: BF0A4252
	s_cselect_b32 s20, s36, s60                                // 000000006C40: 85143C24
	v_readlane_b32 s82, v3, 3                                  // 000000006C44: D2890052 00010703
	s_and_b32 s82, s82, 0xffffff                               // 000000006C4C: 8652FF52 00FFFFFF
	s_cmp_lt_u32 s82, s66                                      // 000000006C54: BF0A4252
	s_cselect_b32 s21, s36, s60                                // 000000006C58: 85153C24
	s_mov_b64 exec, s[20:21]                                   // 000000006C5C: BEFE0114
	buffer_store_dword v53, v6, s[8:11], 0 offen               // 000000006C60: E0701000 80023506
	buffer_store_dword v55, v6, s[8:11], 0 offen offset:128    // 000000006C68: E0701080 80023706
	buffer_store_dword v57, v6, s[8:11], 0 offen offset:256    // 000000006C70: E0701100 80023906
	buffer_store_dword v59, v6, s[8:11], 0 offen offset:384    // 000000006C78: E0701180 80023B06
	buffer_store_dword v61, v6, s[8:11], 0 offen offset:512    // 000000006C80: E0701200 80023D06
	buffer_store_dword v63, v6, s[8:11], 0 offen offset:640    // 000000006C88: E0701280 80023F06
	s_mov_b64 exec, s[36:37]                                   // 000000006C90: BEFE0124
	v_mov_b32_e32 v6, v41                                      // 000000006C94: 7E0C0329
	s_mov_b64 s[60:61], 0                                      // 000000006C98: BEBC0180
	v_readlane_b32 s82, v3, 4                                  // 000000006C9C: D2890052 00010903
	s_and_b32 s82, s82, 0xffffff                               // 000000006CA4: 8652FF52 00FFFFFF
	s_cmp_lt_u32 s82, s66                                      // 000000006CAC: BF0A4252
	s_cselect_b32 s20, s36, s60                                // 000000006CB0: 85143C24
	v_readlane_b32 s82, v3, 5                                  // 000000006CB4: D2890052 00010B03
	s_and_b32 s82, s82, 0xffffff                               // 000000006CBC: 8652FF52 00FFFFFF
	s_cmp_lt_u32 s82, s66                                      // 000000006CC4: BF0A4252
	s_cselect_b32 s21, s36, s60                                // 000000006CC8: 85153C24
	s_mov_b64 exec, s[20:21]                                   // 000000006CCC: BEFE0114
	buffer_store_dword v64, v6, s[8:11], 0 offen               // 000000006CD0: E0701000 80024006
	buffer_store_dword v66, v6, s[8:11], 0 offen offset:128    // 000000006CD8: E0701080 80024206
	buffer_store_dword v68, v6, s[8:11], 0 offen offset:256    // 000000006CE0: E0701100 80024406
	buffer_store_dword v70, v6, s[8:11], 0 offen offset:384    // 000000006CE8: E0701180 80024606
	buffer_store_dword v72, v6, s[8:11], 0 offen offset:512    // 000000006CF0: E0701200 80024806
	buffer_store_dword v74, v6, s[8:11], 0 offen offset:640    // 000000006CF8: E0701280 80024A06
	s_mov_b64 exec, s[36:37]                                   // 000000006D00: BEFE0124
	v_mov_b32_e32 v6, v42                                      // 000000006D04: 7E0C032A
	s_mov_b64 s[60:61], 0                                      // 000000006D08: BEBC0180
	v_readlane_b32 s82, v3, 6                                  // 000000006D0C: D2890052 00010D03
	s_and_b32 s82, s82, 0xffffff                               // 000000006D14: 8652FF52 00FFFFFF
	s_cmp_lt_u32 s82, s66                                      // 000000006D1C: BF0A4252
	s_cselect_b32 s20, s36, s60                                // 000000006D20: 85143C24
	v_readlane_b32 s82, v3, 7                                  // 000000006D24: D2890052 00010F03
	s_and_b32 s82, s82, 0xffffff                               // 000000006D2C: 8652FF52 00FFFFFF
	s_cmp_lt_u32 s82, s66                                      // 000000006D34: BF0A4252
	s_cselect_b32 s21, s36, s60                                // 000000006D38: 85153C24
	s_mov_b64 exec, s[20:21]                                   // 000000006D3C: BEFE0114
	buffer_store_dword v65, v6, s[8:11], 0 offen               // 000000006D40: E0701000 80024106
	buffer_store_dword v67, v6, s[8:11], 0 offen offset:128    // 000000006D48: E0701080 80024306
	buffer_store_dword v69, v6, s[8:11], 0 offen offset:256    // 000000006D50: E0701100 80024506
	buffer_store_dword v71, v6, s[8:11], 0 offen offset:384    // 000000006D58: E0701180 80024706
	buffer_store_dword v73, v6, s[8:11], 0 offen offset:512    // 000000006D60: E0701200 80024906
	buffer_store_dword v75, v6, s[8:11], 0 offen offset:640    // 000000006D68: E0701280 80024B06
	s_mov_b64 exec, s[36:37]                                   // 000000006D70: BEFE0124
	s_branch label_2547                                        // 000000006D74: BF8214E6

0000000000006d78 <label_105E>:
	ds_write_b64 v20, v[52:53]                                 // 000000006D78: D89A0000 00003414
	ds_write_b64 v20, v[56:57] offset:13056                    // 000000006D80: D89A3300 00003814
	ds_write_b64 v20, v[60:61] offset:2176                     // 000000006D88: D89A0880 00003C14
	ds_write_b64 v20, v[64:65] offset:15232                    // 000000006D90: D89A3B80 00004014
	ds_write_b64 v20, v[68:69] offset:4352                     // 000000006D98: D89A1100 00004414
	ds_write_b64 v20, v[72:73] offset:17408                    // 000000006DA0: D89A4400 00004814
	ds_write_b64 v20, v[76:77] offset:6528                     // 000000006DA8: D89A1980 00004C14
	ds_write_b64 v20, v[80:81] offset:19584                    // 000000006DB0: D89A4C80 00005014
	ds_write_b64 v20, v[84:85] offset:8704                     // 000000006DB8: D89A2200 00005414
	ds_write_b64 v20, v[88:89] offset:21760                    // 000000006DC0: D89A5500 00005814
	ds_write_b64 v20, v[92:93] offset:10880                    // 000000006DC8: D89A2A80 00005C14
	ds_write_b64 v20, v[96:97] offset:23936                    // 000000006DD0: D89A5D80 00006014
	v_lshrrev_b32_e32 v4, 5, v0                                // 000000006DD8: 20080085
	v_xor_b32_e32 v5, 1, v4                                    // 000000006DDC: 2A0A0881
	s_mul_i32 s60, s65, 2                                      // 000000006DE0: 923C8241
	s_cmp_eq_u32 s88, 0                                        // 000000006DE4: BF068058
	s_cselect_b32 s61, 1, 4                                    // 000000006DE8: 853D8481
	s_mul_i32 s60, s61, s60                                    // 000000006DEC: 923C3C3D
	v_readlane_b32 s82, v3, 0                                  // 000000006DF0: D2890052 00010103
	s_lshr_b32 s61, s82, 24                                    // 000000006DF8: 8F3D9852
	s_and_b32 s82, s82, 0xffffff                               // 000000006DFC: 8652FF52 00FFFFFF
	s_mul_i32 s82, s82, s71                                    // 000000006E04: 92524752
	s_mul_i32 s61, s60, s61                                    // 000000006E08: 923D3D3C
	s_add_u32 s82, s82, s61                                    // 000000006E0C: 80523D52
	v_mul_lo_u32 v6, v5, s82                                   // 000000006E10: D2850006 0000A505
	v_readlane_b32 s82, v3, 1                                  // 000000006E18: D2890052 00010303
	s_lshr_b32 s61, s82, 24                                    // 000000006E20: 8F3D9852
	s_and_b32 s82, s82, 0xffffff                               // 000000006E24: 8652FF52 00FFFFFF
	s_mul_i32 s82, s82, s71                                    // 000000006E2C: 92524752
	s_mul_i32 s61, s60, s61                                    // 000000006E30: 923D3D3C
	s_add_u32 s82, s82, s61                                    // 000000006E34: 80523D52
	v_mul_lo_u32 v7, v4, s82                                   // 000000006E38: D2850007 0000A504
	v_add_u32_e32 v39, v6, v7                                  // 000000006E40: 684E0F06
	v_readlane_b32 s82, v3, 2                                  // 000000006E44: D2890052 00010503
	s_lshr_b32 s61, s82, 24                                    // 000000006E4C: 8F3D9852
	s_and_b32 s82, s82, 0xffffff                               // 000000006E50: 8652FF52 00FFFFFF
	s_mul_i32 s82, s82, s71                                    // 000000006E58: 92524752
	s_mul_i32 s61, s60, s61                                    // 000000006E5C: 923D3D3C
	s_add_u32 s82, s82, s61                                    // 000000006E60: 80523D52
	v_mul_lo_u32 v6, v5, s82                                   // 000000006E64: D2850006 0000A505
	v_readlane_b32 s82, v3, 3                                  // 000000006E6C: D2890052 00010703
	s_lshr_b32 s61, s82, 24                                    // 000000006E74: 8F3D9852
	s_and_b32 s82, s82, 0xffffff                               // 000000006E78: 8652FF52 00FFFFFF
	s_mul_i32 s82, s82, s71                                    // 000000006E80: 92524752
	s_mul_i32 s61, s60, s61                                    // 000000006E84: 923D3D3C
	s_add_u32 s82, s82, s61                                    // 000000006E88: 80523D52
	v_mul_lo_u32 v7, v4, s82                                   // 000000006E8C: D2850007 0000A504
	v_add_u32_e32 v40, v6, v7                                  // 000000006E94: 68500F06
	v_readlane_b32 s82, v3, 4                                  // 000000006E98: D2890052 00010903
	s_lshr_b32 s61, s82, 24                                    // 000000006EA0: 8F3D9852
	s_and_b32 s82, s82, 0xffffff                               // 000000006EA4: 8652FF52 00FFFFFF
	s_mul_i32 s82, s82, s71                                    // 000000006EAC: 92524752
	s_mul_i32 s61, s60, s61                                    // 000000006EB0: 923D3D3C
	s_add_u32 s82, s82, s61                                    // 000000006EB4: 80523D52
	v_mul_lo_u32 v6, v5, s82                                   // 000000006EB8: D2850006 0000A505
	v_readlane_b32 s82, v3, 5                                  // 000000006EC0: D2890052 00010B03
	s_lshr_b32 s61, s82, 24                                    // 000000006EC8: 8F3D9852
	s_and_b32 s82, s82, 0xffffff                               // 000000006ECC: 8652FF52 00FFFFFF
	s_mul_i32 s82, s82, s71                                    // 000000006ED4: 92524752
	s_mul_i32 s61, s60, s61                                    // 000000006ED8: 923D3D3C
	s_add_u32 s82, s82, s61                                    // 000000006EDC: 80523D52
	v_mul_lo_u32 v7, v4, s82                                   // 000000006EE0: D2850007 0000A504
	v_add_u32_e32 v41, v6, v7                                  // 000000006EE8: 68520F06
	v_readlane_b32 s82, v3, 6                                  // 000000006EEC: D2890052 00010D03
	s_lshr_b32 s61, s82, 24                                    // 000000006EF4: 8F3D9852
	s_and_b32 s82, s82, 0xffffff                               // 000000006EF8: 8652FF52 00FFFFFF
	s_mul_i32 s82, s82, s71                                    // 000000006F00: 92524752
	s_mul_i32 s61, s60, s61                                    // 000000006F04: 923D3D3C
	s_add_u32 s82, s82, s61                                    // 000000006F08: 80523D52
	v_mul_lo_u32 v6, v5, s82                                   // 000000006F0C: D2850006 0000A505
	v_readlane_b32 s82, v3, 7                                  // 000000006F14: D2890052 00010F03
	s_lshr_b32 s61, s82, 24                                    // 000000006F1C: 8F3D9852
	s_and_b32 s82, s82, 0xffffff                               // 000000006F20: 8652FF52 00FFFFFF
	s_mul_i32 s82, s82, s71                                    // 000000006F28: 92524752
	s_mul_i32 s61, s60, s61                                    // 000000006F2C: 923D3D3C
	s_add_u32 s82, s82, s61                                    // 000000006F30: 80523D52
	v_mul_lo_u32 v7, v4, s82                                   // 000000006F34: D2850007 0000A504
	v_add_u32_e32 v42, v6, v7                                  // 000000006F3C: 68540F06
	v_and_b32_e32 v4, 31, v0                                   // 000000006F40: 2608009F
	v_lshrrev_b32_e32 v4, 1, v4                                // 000000006F44: 20080881
	s_cmp_eq_u32 s88, 0                                        // 000000006F48: BF068058
	s_cselect_b32 s61, 2, 4                                    // 000000006F4C: 853D8482
	v_mul_lo_u32 v4, v4, s61                                   // 000000006F50: D2850004 00007B04
	v_and_b32_e64 v5, v0, 1                                    // 000000006F58: D1130005 00010300
	v_add_u32_e32 v4, v4, v5                                   // 000000006F60: 68080B04
	v_lshlrev_b32_e32 v4, 2, v4                                // 000000006F64: 24080882
	v_add_u32_e32 v39, v39, v4                                 // 000000006F68: 684E0927
	v_add_u32_e32 v40, v40, v4                                 // 000000006F6C: 68500928
	v_add_u32_e32 v41, v41, v4                                 // 000000006F70: 68520929
	v_add_u32_e32 v42, v42, v4                                 // 000000006F74: 6854092A
	s_waitcnt lgkmcnt(0)                                       // 000000006F78: BF8CC07F
	s_barrier                                                  // 000000006F7C: BF8A0000
	ds_read_b32 v52, v21                                       // 000000006F80: D86C0000 34000015
	ds_read_b32 v53, v21 offset:64                             // 000000006F88: D86C0040 35000015
	ds_read_b32 v56, v21 offset:2176                           // 000000006F90: D86C0880 38000015
	ds_read_b32 v57, v21 offset:2240                           // 000000006F98: D86C08C0 39000015
	ds_read_b32 v60, v21 offset:4352                           // 000000006FA0: D86C1100 3C000015
	ds_read_b32 v61, v21 offset:4416                           // 000000006FA8: D86C1140 3D000015
	ds_read_b32 v64, v21 offset:6528                           // 000000006FB0: D86C1980 40000015
	ds_read_b32 v65, v21 offset:6592                           // 000000006FB8: D86C19C0 41000015
	ds_read_b32 v68, v21 offset:8704                           // 000000006FC0: D86C2200 44000015
	ds_read_b32 v69, v21 offset:8768                           // 000000006FC8: D86C2240 45000015
	ds_read_b32 v72, v21 offset:10880                          // 000000006FD0: D86C2A80 48000015
	ds_read_b32 v73, v21 offset:10944                          // 000000006FD8: D86C2AC0 49000015
	ds_read_b32 v76, v21 offset:13056                          // 000000006FE0: D86C3300 4C000015
	ds_read_b32 v77, v21 offset:13120                          // 000000006FE8: D86C3340 4D000015
	ds_read_b32 v80, v21 offset:15232                          // 000000006FF0: D86C3B80 50000015
	ds_read_b32 v81, v21 offset:15296                          // 000000006FF8: D86C3BC0 51000015
	ds_read_b32 v84, v21 offset:17408                          // 000000007000: D86C4400 54000015
	ds_read_b32 v85, v21 offset:17472                          // 000000007008: D86C4440 55000015
	ds_read_b32 v88, v21 offset:19584                          // 000000007010: D86C4C80 58000015
	ds_read_b32 v89, v21 offset:19648                          // 000000007018: D86C4CC0 59000015
	ds_read_b32 v92, v21 offset:21760                          // 000000007020: D86C5500 5C000015
	ds_read_b32 v93, v21 offset:21824                          // 000000007028: D86C5540 5D000015
	ds_read_b32 v96, v21 offset:23936                          // 000000007030: D86C5D80 60000015
	ds_read_b32 v97, v21 offset:24000                          // 000000007038: D86C5DC0 61000015
	s_waitcnt lgkmcnt(0)                                       // 000000007040: BF8CC07F
	s_mov_b32 s36, -1                                          // 000000007044: BEA400C1
	s_mov_b32 s37, -1                                          // 000000007048: BEA500C1
	v_mov_b32_e32 v7, 0                                        // 00000000704C: 7E0E0280
	s_mov_b64 exec, s[36:37]                                   // 000000007050: BEFE0124
	v_mov_b32_e32 v6, v39                                      // 000000007054: 7E0C0327
	s_mov_b64 s[60:61], 0                                      // 000000007058: BEBC0180
	v_readlane_b32 s82, v3, 0                                  // 00000000705C: D2890052 00010103
	s_and_b32 s82, s82, 0xffffff                               // 000000007064: 8652FF52 00FFFFFF
	s_cmp_lt_u32 s82, s66                                      // 00000000706C: BF0A4252
	s_cselect_b32 s20, s36, s60                                // 000000007070: 85143C24
	v_readlane_b32 s82, v3, 1                                  // 000000007074: D2890052 00010303
	s_and_b32 s82, s82, 0xffffff                               // 00000000707C: 8652FF52 00FFFFFF
	s_cmp_lt_u32 s82, s66                                      // 000000007084: BF0A4252
	s_cselect_b32 s21, s36, s60                                // 000000007088: 85153C24
	s_mov_b64 exec, s[20:21]                                   // 00000000708C: BEFE0114
	global_atomic_add_f32 v6, v52, s[8:9]                      // 000000007090: DD348000 00083406
	global_atomic_add_f32 v6, v56, s[8:9] offset:256           // 000000007098: DD348100 00083806
	global_atomic_add_f32 v6, v60, s[8:9] offset:512           // 0000000070A0: DD348200 00083C06
	global_atomic_add_f32 v6, v64, s[8:9] offset:768           // 0000000070A8: DD348300 00084006
	global_atomic_add_f32 v6, v68, s[8:9] offset:1024          // 0000000070B0: DD348400 00084406
	global_atomic_add_f32 v6, v72, s[8:9] offset:1280          // 0000000070B8: DD348500 00084806
	s_mov_b64 exec, s[36:37]                                   // 0000000070C0: BEFE0124
	v_mov_b32_e32 v6, v40                                      // 0000000070C4: 7E0C0328
	s_mov_b64 s[60:61], 0                                      // 0000000070C8: BEBC0180
	v_readlane_b32 s82, v3, 2                                  // 0000000070CC: D2890052 00010503
	s_and_b32 s82, s82, 0xffffff                               // 0000000070D4: 8652FF52 00FFFFFF
	s_cmp_lt_u32 s82, s66                                      // 0000000070DC: BF0A4252
	s_cselect_b32 s20, s36, s60                                // 0000000070E0: 85143C24
	v_readlane_b32 s82, v3, 3                                  // 0000000070E4: D2890052 00010703
	s_and_b32 s82, s82, 0xffffff                               // 0000000070EC: 8652FF52 00FFFFFF
	s_cmp_lt_u32 s82, s66                                      // 0000000070F4: BF0A4252
	s_cselect_b32 s21, s36, s60                                // 0000000070F8: 85153C24
	s_mov_b64 exec, s[20:21]                                   // 0000000070FC: BEFE0114
	global_atomic_add_f32 v6, v53, s[8:9]                      // 000000007100: DD348000 00083506
	global_atomic_add_f32 v6, v57, s[8:9] offset:256           // 000000007108: DD348100 00083906
	global_atomic_add_f32 v6, v61, s[8:9] offset:512           // 000000007110: DD348200 00083D06
	global_atomic_add_f32 v6, v65, s[8:9] offset:768           // 000000007118: DD348300 00084106
	global_atomic_add_f32 v6, v69, s[8:9] offset:1024          // 000000007120: DD348400 00084506
	global_atomic_add_f32 v6, v73, s[8:9] offset:1280          // 000000007128: DD348500 00084906
	s_mov_b64 exec, s[36:37]                                   // 000000007130: BEFE0124
	v_mov_b32_e32 v6, v41                                      // 000000007134: 7E0C0329
	s_mov_b64 s[60:61], 0                                      // 000000007138: BEBC0180
	v_readlane_b32 s82, v3, 4                                  // 00000000713C: D2890052 00010903
	s_and_b32 s82, s82, 0xffffff                               // 000000007144: 8652FF52 00FFFFFF
	s_cmp_lt_u32 s82, s66                                      // 00000000714C: BF0A4252
	s_cselect_b32 s20, s36, s60                                // 000000007150: 85143C24
	v_readlane_b32 s82, v3, 5                                  // 000000007154: D2890052 00010B03
	s_and_b32 s82, s82, 0xffffff                               // 00000000715C: 8652FF52 00FFFFFF
	s_cmp_lt_u32 s82, s66                                      // 000000007164: BF0A4252
	s_cselect_b32 s21, s36, s60                                // 000000007168: 85153C24
	s_mov_b64 exec, s[20:21]                                   // 00000000716C: BEFE0114
	global_atomic_add_f32 v6, v76, s[8:9]                      // 000000007170: DD348000 00084C06
	global_atomic_add_f32 v6, v80, s[8:9] offset:256           // 000000007178: DD348100 00085006
	global_atomic_add_f32 v6, v84, s[8:9] offset:512           // 000000007180: DD348200 00085406
	global_atomic_add_f32 v6, v88, s[8:9] offset:768           // 000000007188: DD348300 00085806
	global_atomic_add_f32 v6, v92, s[8:9] offset:1024          // 000000007190: DD348400 00085C06
	global_atomic_add_f32 v6, v96, s[8:9] offset:1280          // 000000007198: DD348500 00086006
	s_mov_b64 exec, s[36:37]                                   // 0000000071A0: BEFE0124
	v_mov_b32_e32 v6, v42                                      // 0000000071A4: 7E0C032A
	s_mov_b64 s[60:61], 0                                      // 0000000071A8: BEBC0180
	v_readlane_b32 s82, v3, 6                                  // 0000000071AC: D2890052 00010D03
	s_and_b32 s82, s82, 0xffffff                               // 0000000071B4: 8652FF52 00FFFFFF
	s_cmp_lt_u32 s82, s66                                      // 0000000071BC: BF0A4252
	s_cselect_b32 s20, s36, s60                                // 0000000071C0: 85143C24
	v_readlane_b32 s82, v3, 7                                  // 0000000071C4: D2890052 00010F03
	s_and_b32 s82, s82, 0xffffff                               // 0000000071CC: 8652FF52 00FFFFFF
	s_cmp_lt_u32 s82, s66                                      // 0000000071D4: BF0A4252
	s_cselect_b32 s21, s36, s60                                // 0000000071D8: 85153C24
	s_mov_b64 exec, s[20:21]                                   // 0000000071DC: BEFE0114
	global_atomic_add_f32 v6, v77, s[8:9]                      // 0000000071E0: DD348000 00084D06
	global_atomic_add_f32 v6, v81, s[8:9] offset:256           // 0000000071E8: DD348100 00085106
	global_atomic_add_f32 v6, v85, s[8:9] offset:512           // 0000000071F0: DD348200 00085506
	global_atomic_add_f32 v6, v89, s[8:9] offset:768           // 0000000071F8: DD348300 00085906
	global_atomic_add_f32 v6, v93, s[8:9] offset:1024          // 000000007200: DD348400 00085D06
	global_atomic_add_f32 v6, v97, s[8:9] offset:1280          // 000000007208: DD348500 00086106
	s_mov_b64 exec, s[36:37]                                   // 000000007210: BEFE0124
	ds_write_b64 v20, v[54:55]                                 // 000000007214: D89A0000 00003614
	ds_write_b64 v20, v[58:59] offset:13056                    // 00000000721C: D89A3300 00003A14
	ds_write_b64 v20, v[62:63] offset:2176                     // 000000007224: D89A0880 00003E14
	ds_write_b64 v20, v[66:67] offset:15232                    // 00000000722C: D89A3B80 00004214
	ds_write_b64 v20, v[70:71] offset:4352                     // 000000007234: D89A1100 00004614
	ds_write_b64 v20, v[74:75] offset:17408                    // 00000000723C: D89A4400 00004A14
	ds_write_b64 v20, v[78:79] offset:6528                     // 000000007244: D89A1980 00004E14
	ds_write_b64 v20, v[82:83] offset:19584                    // 00000000724C: D89A4C80 00005214
	ds_write_b64 v20, v[86:87] offset:8704                     // 000000007254: D89A2200 00005614
	ds_write_b64 v20, v[90:91] offset:21760                    // 00000000725C: D89A5500 00005A14
	ds_write_b64 v20, v[94:95] offset:10880                    // 000000007264: D89A2A80 00005E14
	ds_write_b64 v20, v[98:99] offset:23936                    // 00000000726C: D89A5D80 00006214
	s_waitcnt lgkmcnt(0)                                       // 000000007274: BF8CC07F
	s_barrier                                                  // 000000007278: BF8A0000
	ds_read_b32 v54, v21                                       // 00000000727C: D86C0000 36000015
	ds_read_b32 v55, v21 offset:64                             // 000000007284: D86C0040 37000015
	ds_read_b32 v58, v21 offset:2176                           // 00000000728C: D86C0880 3A000015
	ds_read_b32 v59, v21 offset:2240                           // 000000007294: D86C08C0 3B000015
	ds_read_b32 v62, v21 offset:4352                           // 00000000729C: D86C1100 3E000015
	ds_read_b32 v63, v21 offset:4416                           // 0000000072A4: D86C1140 3F000015
	ds_read_b32 v66, v21 offset:6528                           // 0000000072AC: D86C1980 42000015
	ds_read_b32 v67, v21 offset:6592                           // 0000000072B4: D86C19C0 43000015
	ds_read_b32 v70, v21 offset:8704                           // 0000000072BC: D86C2200 46000015
	ds_read_b32 v71, v21 offset:8768                           // 0000000072C4: D86C2240 47000015
	ds_read_b32 v74, v21 offset:10880                          // 0000000072CC: D86C2A80 4A000015
	ds_read_b32 v75, v21 offset:10944                          // 0000000072D4: D86C2AC0 4B000015
	ds_read_b32 v78, v21 offset:13056                          // 0000000072DC: D86C3300 4E000015
	ds_read_b32 v79, v21 offset:13120                          // 0000000072E4: D86C3340 4F000015
	ds_read_b32 v82, v21 offset:15232                          // 0000000072EC: D86C3B80 52000015
	ds_read_b32 v83, v21 offset:15296                          // 0000000072F4: D86C3BC0 53000015
	ds_read_b32 v86, v21 offset:17408                          // 0000000072FC: D86C4400 56000015
	ds_read_b32 v87, v21 offset:17472                          // 000000007304: D86C4440 57000015
	ds_read_b32 v90, v21 offset:19584                          // 00000000730C: D86C4C80 5A000015
	ds_read_b32 v91, v21 offset:19648                          // 000000007314: D86C4CC0 5B000015
	ds_read_b32 v94, v21 offset:21760                          // 00000000731C: D86C5500 5E000015
	ds_read_b32 v95, v21 offset:21824                          // 000000007324: D86C5540 5F000015
	ds_read_b32 v98, v21 offset:23936                          // 00000000732C: D86C5D80 62000015
	ds_read_b32 v99, v21 offset:24000                          // 000000007334: D86C5DC0 63000015
	s_waitcnt lgkmcnt(0)                                       // 00000000733C: BF8CC07F
	v_mov_b32_e32 v7, 0                                        // 000000007340: 7E0E0280
	s_mov_b64 exec, s[36:37]                                   // 000000007344: BEFE0124
	v_mov_b32_e32 v6, v39                                      // 000000007348: 7E0C0327
	s_mov_b64 s[60:61], 0                                      // 00000000734C: BEBC0180
	v_readlane_b32 s82, v3, 0                                  // 000000007350: D2890052 00010103
	s_and_b32 s82, s82, 0xffffff                               // 000000007358: 8652FF52 00FFFFFF
	s_cmp_lt_u32 s82, s66                                      // 000000007360: BF0A4252
	s_cselect_b32 s20, s36, s60                                // 000000007364: 85143C24
	v_readlane_b32 s82, v3, 1                                  // 000000007368: D2890052 00010303
	s_and_b32 s82, s82, 0xffffff                               // 000000007370: 8652FF52 00FFFFFF
	s_cmp_lt_u32 s82, s66                                      // 000000007378: BF0A4252
	s_cselect_b32 s21, s36, s60                                // 00000000737C: 85153C24
	s_mov_b64 exec, s[20:21]                                   // 000000007380: BEFE0114
	global_atomic_add_f32 v6, v54, s[8:9] offset:8             // 000000007384: DD348008 00083606
	global_atomic_add_f32 v6, v58, s[8:9] offset:264           // 00000000738C: DD348108 00083A06
	global_atomic_add_f32 v6, v62, s[8:9] offset:520           // 000000007394: DD348208 00083E06
	global_atomic_add_f32 v6, v66, s[8:9] offset:776           // 00000000739C: DD348308 00084206
	global_atomic_add_f32 v6, v70, s[8:9] offset:1032          // 0000000073A4: DD348408 00084606
	global_atomic_add_f32 v6, v74, s[8:9] offset:1288          // 0000000073AC: DD348508 00084A06
	s_mov_b64 exec, s[36:37]                                   // 0000000073B4: BEFE0124
	v_mov_b32_e32 v6, v40                                      // 0000000073B8: 7E0C0328
	s_mov_b64 s[60:61], 0                                      // 0000000073BC: BEBC0180
	v_readlane_b32 s82, v3, 2                                  // 0000000073C0: D2890052 00010503
	s_and_b32 s82, s82, 0xffffff                               // 0000000073C8: 8652FF52 00FFFFFF
	s_cmp_lt_u32 s82, s66                                      // 0000000073D0: BF0A4252
	s_cselect_b32 s20, s36, s60                                // 0000000073D4: 85143C24
	v_readlane_b32 s82, v3, 3                                  // 0000000073D8: D2890052 00010703
	s_and_b32 s82, s82, 0xffffff                               // 0000000073E0: 8652FF52 00FFFFFF
	s_cmp_lt_u32 s82, s66                                      // 0000000073E8: BF0A4252
	s_cselect_b32 s21, s36, s60                                // 0000000073EC: 85153C24
	s_mov_b64 exec, s[20:21]                                   // 0000000073F0: BEFE0114
	global_atomic_add_f32 v6, v55, s[8:9] offset:8             // 0000000073F4: DD348008 00083706
	global_atomic_add_f32 v6, v59, s[8:9] offset:264           // 0000000073FC: DD348108 00083B06
	global_atomic_add_f32 v6, v63, s[8:9] offset:520           // 000000007404: DD348208 00083F06
	global_atomic_add_f32 v6, v67, s[8:9] offset:776           // 00000000740C: DD348308 00084306
	global_atomic_add_f32 v6, v71, s[8:9] offset:1032          // 000000007414: DD348408 00084706
	global_atomic_add_f32 v6, v75, s[8:9] offset:1288          // 00000000741C: DD348508 00084B06
	s_mov_b64 exec, s[36:37]                                   // 000000007424: BEFE0124
	v_mov_b32_e32 v6, v41                                      // 000000007428: 7E0C0329
	s_mov_b64 s[60:61], 0                                      // 00000000742C: BEBC0180
	v_readlane_b32 s82, v3, 4                                  // 000000007430: D2890052 00010903
	s_and_b32 s82, s82, 0xffffff                               // 000000007438: 8652FF52 00FFFFFF
	s_cmp_lt_u32 s82, s66                                      // 000000007440: BF0A4252
	s_cselect_b32 s20, s36, s60                                // 000000007444: 85143C24
	v_readlane_b32 s82, v3, 5                                  // 000000007448: D2890052 00010B03
	s_and_b32 s82, s82, 0xffffff                               // 000000007450: 8652FF52 00FFFFFF
	s_cmp_lt_u32 s82, s66                                      // 000000007458: BF0A4252
	s_cselect_b32 s21, s36, s60                                // 00000000745C: 85153C24
	s_mov_b64 exec, s[20:21]                                   // 000000007460: BEFE0114
	global_atomic_add_f32 v6, v78, s[8:9] offset:8             // 000000007464: DD348008 00084E06
	global_atomic_add_f32 v6, v82, s[8:9] offset:264           // 00000000746C: DD348108 00085206
	global_atomic_add_f32 v6, v86, s[8:9] offset:520           // 000000007474: DD348208 00085606
	global_atomic_add_f32 v6, v90, s[8:9] offset:776           // 00000000747C: DD348308 00085A06
	global_atomic_add_f32 v6, v94, s[8:9] offset:1032          // 000000007484: DD348408 00085E06
	global_atomic_add_f32 v6, v98, s[8:9] offset:1288          // 00000000748C: DD348508 00086206
	s_mov_b64 exec, s[36:37]                                   // 000000007494: BEFE0124
	v_mov_b32_e32 v6, v42                                      // 000000007498: 7E0C032A
	s_mov_b64 s[60:61], 0                                      // 00000000749C: BEBC0180
	v_readlane_b32 s82, v3, 6                                  // 0000000074A0: D2890052 00010D03
	s_and_b32 s82, s82, 0xffffff                               // 0000000074A8: 8652FF52 00FFFFFF
	s_cmp_lt_u32 s82, s66                                      // 0000000074B0: BF0A4252
	s_cselect_b32 s20, s36, s60                                // 0000000074B4: 85143C24
	v_readlane_b32 s82, v3, 7                                  // 0000000074B8: D2890052 00010F03
	s_and_b32 s82, s82, 0xffffff                               // 0000000074C0: 8652FF52 00FFFFFF
	s_cmp_lt_u32 s82, s66                                      // 0000000074C8: BF0A4252
	s_cselect_b32 s21, s36, s60                                // 0000000074CC: 85153C24
	s_mov_b64 exec, s[20:21]                                   // 0000000074D0: BEFE0114
	global_atomic_add_f32 v6, v79, s[8:9] offset:8             // 0000000074D4: DD348008 00084F06
	global_atomic_add_f32 v6, v83, s[8:9] offset:264           // 0000000074DC: DD348108 00085306
	global_atomic_add_f32 v6, v87, s[8:9] offset:520           // 0000000074E4: DD348208 00085706
	global_atomic_add_f32 v6, v91, s[8:9] offset:776           // 0000000074EC: DD348308 00085B06
	global_atomic_add_f32 v6, v95, s[8:9] offset:1032          // 0000000074F4: DD348408 00085F06
	global_atomic_add_f32 v6, v99, s[8:9] offset:1288          // 0000000074FC: DD348508 00086306
	s_mov_b64 exec, s[36:37]                                   // 000000007504: BEFE0124
	ds_write_b64 v20, v[100:101]                               // 000000007508: D89A0000 00006414
	ds_write_b64 v20, v[104:105] offset:13056                  // 000000007510: D89A3300 00006814
	ds_write_b64 v20, v[108:109] offset:2176                   // 000000007518: D89A0880 00006C14
	ds_write_b64 v20, v[112:113] offset:15232                  // 000000007520: D89A3B80 00007014
	ds_write_b64 v20, v[116:117] offset:4352                   // 000000007528: D89A1100 00007414
	ds_write_b64 v20, v[120:121] offset:17408                  // 000000007530: D89A4400 00007814
	ds_write_b64 v20, v[124:125] offset:6528                   // 000000007538: D89A1980 00007C14
	ds_write_b64 v20, v[128:129] offset:19584                  // 000000007540: D89A4C80 00008014
	ds_write_b64 v20, v[132:133] offset:8704                   // 000000007548: D89A2200 00008414
	ds_write_b64 v20, v[136:137] offset:21760                  // 000000007550: D89A5500 00008814
	ds_write_b64 v20, v[140:141] offset:10880                  // 000000007558: D89A2A80 00008C14
	ds_write_b64 v20, v[144:145] offset:23936                  // 000000007560: D89A5D80 00009014
	s_waitcnt lgkmcnt(0)                                       // 000000007568: BF8CC07F
	s_barrier                                                  // 00000000756C: BF8A0000
	ds_read_b32 v100, v21                                      // 000000007570: D86C0000 64000015
	ds_read_b32 v101, v21 offset:64                            // 000000007578: D86C0040 65000015
	ds_read_b32 v104, v21 offset:2176                          // 000000007580: D86C0880 68000015
	ds_read_b32 v105, v21 offset:2240                          // 000000007588: D86C08C0 69000015
	ds_read_b32 v108, v21 offset:4352                          // 000000007590: D86C1100 6C000015
	ds_read_b32 v109, v21 offset:4416                          // 000000007598: D86C1140 6D000015
	ds_read_b32 v112, v21 offset:6528                          // 0000000075A0: D86C1980 70000015
	ds_read_b32 v113, v21 offset:6592                          // 0000000075A8: D86C19C0 71000015
	ds_read_b32 v116, v21 offset:8704                          // 0000000075B0: D86C2200 74000015
	ds_read_b32 v117, v21 offset:8768                          // 0000000075B8: D86C2240 75000015
	ds_read_b32 v120, v21 offset:10880                         // 0000000075C0: D86C2A80 78000015
	ds_read_b32 v121, v21 offset:10944                         // 0000000075C8: D86C2AC0 79000015
	ds_read_b32 v124, v21 offset:13056                         // 0000000075D0: D86C3300 7C000015
	ds_read_b32 v125, v21 offset:13120                         // 0000000075D8: D86C3340 7D000015
	ds_read_b32 v128, v21 offset:15232                         // 0000000075E0: D86C3B80 80000015
	ds_read_b32 v129, v21 offset:15296                         // 0000000075E8: D86C3BC0 81000015
	ds_read_b32 v132, v21 offset:17408                         // 0000000075F0: D86C4400 84000015
	ds_read_b32 v133, v21 offset:17472                         // 0000000075F8: D86C4440 85000015
	ds_read_b32 v136, v21 offset:19584                         // 000000007600: D86C4C80 88000015
	ds_read_b32 v137, v21 offset:19648                         // 000000007608: D86C4CC0 89000015
	ds_read_b32 v140, v21 offset:21760                         // 000000007610: D86C5500 8C000015
	ds_read_b32 v141, v21 offset:21824                         // 000000007618: D86C5540 8D000015
	ds_read_b32 v144, v21 offset:23936                         // 000000007620: D86C5D80 90000015
	ds_read_b32 v145, v21 offset:24000                         // 000000007628: D86C5DC0 91000015
	s_mul_i32 s60, s65, 4                                      // 000000007630: 923C8441
	s_add_u32 s8, s60, s8                                      // 000000007634: 8008083C
	s_addc_u32 s9, 0, s9                                       // 000000007638: 82090980
	s_waitcnt lgkmcnt(0)                                       // 00000000763C: BF8CC07F
	v_mov_b32_e32 v7, 0                                        // 000000007640: 7E0E0280
	s_mov_b64 exec, s[36:37]                                   // 000000007644: BEFE0124
	v_mov_b32_e32 v6, v39                                      // 000000007648: 7E0C0327
	s_mov_b64 s[60:61], 0                                      // 00000000764C: BEBC0180
	v_readlane_b32 s82, v3, 0                                  // 000000007650: D2890052 00010103
	s_and_b32 s82, s82, 0xffffff                               // 000000007658: 8652FF52 00FFFFFF
	s_cmp_lt_u32 s82, s66                                      // 000000007660: BF0A4252
	s_cselect_b32 s20, s36, s60                                // 000000007664: 85143C24
	v_readlane_b32 s82, v3, 1                                  // 000000007668: D2890052 00010303
	s_and_b32 s82, s82, 0xffffff                               // 000000007670: 8652FF52 00FFFFFF
	s_cmp_lt_u32 s82, s66                                      // 000000007678: BF0A4252
	s_cselect_b32 s21, s36, s60                                // 00000000767C: 85153C24
	s_mov_b64 exec, s[20:21]                                   // 000000007680: BEFE0114
	global_atomic_add_f32 v6, v100, s[8:9]                     // 000000007684: DD348000 00086406
	global_atomic_add_f32 v6, v104, s[8:9] offset:256          // 00000000768C: DD348100 00086806
	global_atomic_add_f32 v6, v108, s[8:9] offset:512          // 000000007694: DD348200 00086C06
	global_atomic_add_f32 v6, v112, s[8:9] offset:768          // 00000000769C: DD348300 00087006
	global_atomic_add_f32 v6, v116, s[8:9] offset:1024         // 0000000076A4: DD348400 00087406
	global_atomic_add_f32 v6, v120, s[8:9] offset:1280         // 0000000076AC: DD348500 00087806
	s_mov_b64 exec, s[36:37]                                   // 0000000076B4: BEFE0124
	v_mov_b32_e32 v6, v40                                      // 0000000076B8: 7E0C0328
	s_mov_b64 s[60:61], 0                                      // 0000000076BC: BEBC0180
	v_readlane_b32 s82, v3, 2                                  // 0000000076C0: D2890052 00010503
	s_and_b32 s82, s82, 0xffffff                               // 0000000076C8: 8652FF52 00FFFFFF
	s_cmp_lt_u32 s82, s66                                      // 0000000076D0: BF0A4252
	s_cselect_b32 s20, s36, s60                                // 0000000076D4: 85143C24
	v_readlane_b32 s82, v3, 3                                  // 0000000076D8: D2890052 00010703
	s_and_b32 s82, s82, 0xffffff                               // 0000000076E0: 8652FF52 00FFFFFF
	s_cmp_lt_u32 s82, s66                                      // 0000000076E8: BF0A4252
	s_cselect_b32 s21, s36, s60                                // 0000000076EC: 85153C24
	s_mov_b64 exec, s[20:21]                                   // 0000000076F0: BEFE0114
	global_atomic_add_f32 v6, v101, s[8:9]                     // 0000000076F4: DD348000 00086506
	global_atomic_add_f32 v6, v105, s[8:9] offset:256          // 0000000076FC: DD348100 00086906
	global_atomic_add_f32 v6, v109, s[8:9] offset:512          // 000000007704: DD348200 00086D06
	global_atomic_add_f32 v6, v113, s[8:9] offset:768          // 00000000770C: DD348300 00087106
	global_atomic_add_f32 v6, v117, s[8:9] offset:1024         // 000000007714: DD348400 00087506
	global_atomic_add_f32 v6, v121, s[8:9] offset:1280         // 00000000771C: DD348500 00087906
	s_mov_b64 exec, s[36:37]                                   // 000000007724: BEFE0124
	v_mov_b32_e32 v6, v41                                      // 000000007728: 7E0C0329
	s_mov_b64 s[60:61], 0                                      // 00000000772C: BEBC0180
	v_readlane_b32 s82, v3, 4                                  // 000000007730: D2890052 00010903
	s_and_b32 s82, s82, 0xffffff                               // 000000007738: 8652FF52 00FFFFFF
	s_cmp_lt_u32 s82, s66                                      // 000000007740: BF0A4252
	s_cselect_b32 s20, s36, s60                                // 000000007744: 85143C24
	v_readlane_b32 s82, v3, 5                                  // 000000007748: D2890052 00010B03
	s_and_b32 s82, s82, 0xffffff                               // 000000007750: 8652FF52 00FFFFFF
	s_cmp_lt_u32 s82, s66                                      // 000000007758: BF0A4252
	s_cselect_b32 s21, s36, s60                                // 00000000775C: 85153C24
	s_mov_b64 exec, s[20:21]                                   // 000000007760: BEFE0114
	global_atomic_add_f32 v6, v124, s[8:9]                     // 000000007764: DD348000 00087C06
	global_atomic_add_f32 v6, v128, s[8:9] offset:256          // 00000000776C: DD348100 00088006
	global_atomic_add_f32 v6, v132, s[8:9] offset:512          // 000000007774: DD348200 00088406
	global_atomic_add_f32 v6, v136, s[8:9] offset:768          // 00000000777C: DD348300 00088806
	global_atomic_add_f32 v6, v140, s[8:9] offset:1024         // 000000007784: DD348400 00088C06
	global_atomic_add_f32 v6, v144, s[8:9] offset:1280         // 00000000778C: DD348500 00089006
	s_mov_b64 exec, s[36:37]                                   // 000000007794: BEFE0124
	v_mov_b32_e32 v6, v42                                      // 000000007798: 7E0C032A
	s_mov_b64 s[60:61], 0                                      // 00000000779C: BEBC0180
	v_readlane_b32 s82, v3, 6                                  // 0000000077A0: D2890052 00010D03
	s_and_b32 s82, s82, 0xffffff                               // 0000000077A8: 8652FF52 00FFFFFF
	s_cmp_lt_u32 s82, s66                                      // 0000000077B0: BF0A4252
	s_cselect_b32 s20, s36, s60                                // 0000000077B4: 85143C24
	v_readlane_b32 s82, v3, 7                                  // 0000000077B8: D2890052 00010F03
	s_and_b32 s82, s82, 0xffffff                               // 0000000077C0: 8652FF52 00FFFFFF
	s_cmp_lt_u32 s82, s66                                      // 0000000077C8: BF0A4252
	s_cselect_b32 s21, s36, s60                                // 0000000077CC: 85153C24
	s_mov_b64 exec, s[20:21]                                   // 0000000077D0: BEFE0114
	global_atomic_add_f32 v6, v125, s[8:9]                     // 0000000077D4: DD348000 00087D06
	global_atomic_add_f32 v6, v129, s[8:9] offset:256          // 0000000077DC: DD348100 00088106
	global_atomic_add_f32 v6, v133, s[8:9] offset:512          // 0000000077E4: DD348200 00088506
	global_atomic_add_f32 v6, v137, s[8:9] offset:768          // 0000000077EC: DD348300 00088906
	global_atomic_add_f32 v6, v141, s[8:9] offset:1024         // 0000000077F4: DD348400 00088D06
	global_atomic_add_f32 v6, v145, s[8:9] offset:1280         // 0000000077FC: DD348500 00089106
	s_mov_b64 exec, s[36:37]                                   // 000000007804: BEFE0124
	ds_write_b64 v20, v[102:103]                               // 000000007808: D89A0000 00006614
	ds_write_b64 v20, v[106:107] offset:13056                  // 000000007810: D89A3300 00006A14
	ds_write_b64 v20, v[110:111] offset:2176                   // 000000007818: D89A0880 00006E14
	ds_write_b64 v20, v[114:115] offset:15232                  // 000000007820: D89A3B80 00007214
	ds_write_b64 v20, v[118:119] offset:4352                   // 000000007828: D89A1100 00007614
	ds_write_b64 v20, v[122:123] offset:17408                  // 000000007830: D89A4400 00007A14
	ds_write_b64 v20, v[126:127] offset:6528                   // 000000007838: D89A1980 00007E14
	ds_write_b64 v20, v[130:131] offset:19584                  // 000000007840: D89A4C80 00008214
	ds_write_b64 v20, v[134:135] offset:8704                   // 000000007848: D89A2200 00008614
	ds_write_b64 v20, v[138:139] offset:21760                  // 000000007850: D89A5500 00008A14
	ds_write_b64 v20, v[142:143] offset:10880                  // 000000007858: D89A2A80 00008E14
	ds_write_b64 v20, v[146:147] offset:23936                  // 000000007860: D89A5D80 00009214
	s_waitcnt lgkmcnt(0)                                       // 000000007868: BF8CC07F
	s_barrier                                                  // 00000000786C: BF8A0000
	ds_read_b32 v102, v21                                      // 000000007870: D86C0000 66000015
	ds_read_b32 v103, v21 offset:64                            // 000000007878: D86C0040 67000015
	ds_read_b32 v106, v21 offset:2176                          // 000000007880: D86C0880 6A000015
	ds_read_b32 v107, v21 offset:2240                          // 000000007888: D86C08C0 6B000015
	ds_read_b32 v110, v21 offset:4352                          // 000000007890: D86C1100 6E000015
	ds_read_b32 v111, v21 offset:4416                          // 000000007898: D86C1140 6F000015
	ds_read_b32 v114, v21 offset:6528                          // 0000000078A0: D86C1980 72000015
	ds_read_b32 v115, v21 offset:6592                          // 0000000078A8: D86C19C0 73000015
	ds_read_b32 v118, v21 offset:8704                          // 0000000078B0: D86C2200 76000015
	ds_read_b32 v119, v21 offset:8768                          // 0000000078B8: D86C2240 77000015
	ds_read_b32 v122, v21 offset:10880                         // 0000000078C0: D86C2A80 7A000015
	ds_read_b32 v123, v21 offset:10944                         // 0000000078C8: D86C2AC0 7B000015
	ds_read_b32 v126, v21 offset:13056                         // 0000000078D0: D86C3300 7E000015
	ds_read_b32 v127, v21 offset:13120                         // 0000000078D8: D86C3340 7F000015
	ds_read_b32 v130, v21 offset:15232                         // 0000000078E0: D86C3B80 82000015
	ds_read_b32 v131, v21 offset:15296                         // 0000000078E8: D86C3BC0 83000015
	ds_read_b32 v134, v21 offset:17408                         // 0000000078F0: D86C4400 86000015
	ds_read_b32 v135, v21 offset:17472                         // 0000000078F8: D86C4440 87000015
	ds_read_b32 v138, v21 offset:19584                         // 000000007900: D86C4C80 8A000015
	ds_read_b32 v139, v21 offset:19648                         // 000000007908: D86C4CC0 8B000015
	ds_read_b32 v142, v21 offset:21760                         // 000000007910: D86C5500 8E000015
	ds_read_b32 v143, v21 offset:21824                         // 000000007918: D86C5540 8F000015
	ds_read_b32 v146, v21 offset:23936                         // 000000007920: D86C5D80 92000015
	ds_read_b32 v147, v21 offset:24000                         // 000000007928: D86C5DC0 93000015
	s_waitcnt lgkmcnt(0)                                       // 000000007930: BF8CC07F
	v_mov_b32_e32 v7, 0                                        // 000000007934: 7E0E0280
	s_mov_b64 exec, s[36:37]                                   // 000000007938: BEFE0124
	v_mov_b32_e32 v6, v39                                      // 00000000793C: 7E0C0327
	s_mov_b64 s[60:61], 0                                      // 000000007940: BEBC0180
	v_readlane_b32 s82, v3, 0                                  // 000000007944: D2890052 00010103
	s_and_b32 s82, s82, 0xffffff                               // 00000000794C: 8652FF52 00FFFFFF
	s_cmp_lt_u32 s82, s66                                      // 000000007954: BF0A4252
	s_cselect_b32 s20, s36, s60                                // 000000007958: 85143C24
	v_readlane_b32 s82, v3, 1                                  // 00000000795C: D2890052 00010303
	s_and_b32 s82, s82, 0xffffff                               // 000000007964: 8652FF52 00FFFFFF
	s_cmp_lt_u32 s82, s66                                      // 00000000796C: BF0A4252
	s_cselect_b32 s21, s36, s60                                // 000000007970: 85153C24
	s_mov_b64 exec, s[20:21]                                   // 000000007974: BEFE0114
	global_atomic_add_f32 v6, v102, s[8:9] offset:8            // 000000007978: DD348008 00086606
	global_atomic_add_f32 v6, v106, s[8:9] offset:264          // 000000007980: DD348108 00086A06
	global_atomic_add_f32 v6, v110, s[8:9] offset:520          // 000000007988: DD348208 00086E06
	global_atomic_add_f32 v6, v114, s[8:9] offset:776          // 000000007990: DD348308 00087206
	global_atomic_add_f32 v6, v118, s[8:9] offset:1032         // 000000007998: DD348408 00087606
	global_atomic_add_f32 v6, v122, s[8:9] offset:1288         // 0000000079A0: DD348508 00087A06
	s_mov_b64 exec, s[36:37]                                   // 0000000079A8: BEFE0124
	v_mov_b32_e32 v6, v40                                      // 0000000079AC: 7E0C0328
	s_mov_b64 s[60:61], 0                                      // 0000000079B0: BEBC0180
	v_readlane_b32 s82, v3, 2                                  // 0000000079B4: D2890052 00010503
	s_and_b32 s82, s82, 0xffffff                               // 0000000079BC: 8652FF52 00FFFFFF
	s_cmp_lt_u32 s82, s66                                      // 0000000079C4: BF0A4252
	s_cselect_b32 s20, s36, s60                                // 0000000079C8: 85143C24
	v_readlane_b32 s82, v3, 3                                  // 0000000079CC: D2890052 00010703
	s_and_b32 s82, s82, 0xffffff                               // 0000000079D4: 8652FF52 00FFFFFF
	s_cmp_lt_u32 s82, s66                                      // 0000000079DC: BF0A4252
	s_cselect_b32 s21, s36, s60                                // 0000000079E0: 85153C24
	s_mov_b64 exec, s[20:21]                                   // 0000000079E4: BEFE0114
	global_atomic_add_f32 v6, v103, s[8:9] offset:8            // 0000000079E8: DD348008 00086706
	global_atomic_add_f32 v6, v107, s[8:9] offset:264          // 0000000079F0: DD348108 00086B06
	global_atomic_add_f32 v6, v111, s[8:9] offset:520          // 0000000079F8: DD348208 00086F06
	global_atomic_add_f32 v6, v115, s[8:9] offset:776          // 000000007A00: DD348308 00087306
	global_atomic_add_f32 v6, v119, s[8:9] offset:1032         // 000000007A08: DD348408 00087706
	global_atomic_add_f32 v6, v123, s[8:9] offset:1288         // 000000007A10: DD348508 00087B06
	s_mov_b64 exec, s[36:37]                                   // 000000007A18: BEFE0124
	v_mov_b32_e32 v6, v41                                      // 000000007A1C: 7E0C0329
	s_mov_b64 s[60:61], 0                                      // 000000007A20: BEBC0180
	v_readlane_b32 s82, v3, 4                                  // 000000007A24: D2890052 00010903
	s_and_b32 s82, s82, 0xffffff                               // 000000007A2C: 8652FF52 00FFFFFF
	s_cmp_lt_u32 s82, s66                                      // 000000007A34: BF0A4252
	s_cselect_b32 s20, s36, s60                                // 000000007A38: 85143C24
	v_readlane_b32 s82, v3, 5                                  // 000000007A3C: D2890052 00010B03
	s_and_b32 s82, s82, 0xffffff                               // 000000007A44: 8652FF52 00FFFFFF
	s_cmp_lt_u32 s82, s66                                      // 000000007A4C: BF0A4252
	s_cselect_b32 s21, s36, s60                                // 000000007A50: 85153C24
	s_mov_b64 exec, s[20:21]                                   // 000000007A54: BEFE0114
	global_atomic_add_f32 v6, v126, s[8:9] offset:8            // 000000007A58: DD348008 00087E06
	global_atomic_add_f32 v6, v130, s[8:9] offset:264          // 000000007A60: DD348108 00088206
	global_atomic_add_f32 v6, v134, s[8:9] offset:520          // 000000007A68: DD348208 00088606
	global_atomic_add_f32 v6, v138, s[8:9] offset:776          // 000000007A70: DD348308 00088A06
	global_atomic_add_f32 v6, v142, s[8:9] offset:1032         // 000000007A78: DD348408 00088E06
	global_atomic_add_f32 v6, v146, s[8:9] offset:1288         // 000000007A80: DD348508 00089206
	s_mov_b64 exec, s[36:37]                                   // 000000007A88: BEFE0124
	v_mov_b32_e32 v6, v42                                      // 000000007A8C: 7E0C032A
	s_mov_b64 s[60:61], 0                                      // 000000007A90: BEBC0180
	v_readlane_b32 s82, v3, 6                                  // 000000007A94: D2890052 00010D03
	s_and_b32 s82, s82, 0xffffff                               // 000000007A9C: 8652FF52 00FFFFFF
	s_cmp_lt_u32 s82, s66                                      // 000000007AA4: BF0A4252
	s_cselect_b32 s20, s36, s60                                // 000000007AA8: 85143C24
	v_readlane_b32 s82, v3, 7                                  // 000000007AAC: D2890052 00010F03
	s_and_b32 s82, s82, 0xffffff                               // 000000007AB4: 8652FF52 00FFFFFF
	s_cmp_lt_u32 s82, s66                                      // 000000007ABC: BF0A4252
	s_cselect_b32 s21, s36, s60                                // 000000007AC0: 85153C24
	s_mov_b64 exec, s[20:21]                                   // 000000007AC4: BEFE0114
	global_atomic_add_f32 v6, v127, s[8:9] offset:8            // 000000007AC8: DD348008 00087F06
	global_atomic_add_f32 v6, v131, s[8:9] offset:264          // 000000007AD0: DD348108 00088306
	global_atomic_add_f32 v6, v135, s[8:9] offset:520          // 000000007AD8: DD348208 00088706
	global_atomic_add_f32 v6, v139, s[8:9] offset:776          // 000000007AE0: DD348308 00088B06
	global_atomic_add_f32 v6, v143, s[8:9] offset:1032         // 000000007AE8: DD348408 00088F06
	global_atomic_add_f32 v6, v147, s[8:9] offset:1288         // 000000007AF0: DD348508 00089306
	s_mov_b64 exec, s[36:37]                                   // 000000007AF8: BEFE0124
	s_branch label_2547                                        // 000000007AFC: BF821184

0000000000007b00 <label_13C3>:
	s_waitcnt vmcnt(16) lgkmcnt(0)                             // 000000007B00: BF8C4070
	v_mfma_i32_16x16x32_i8 v[52:55], a[32:33], a[0:1], v[52:55]// 000000007B04: D3D70034 1CD20120
	buffer_load_dwordx4 a[128:131], v43, s[24:27], 0 offen     // 000000007B0C: E05C1000 8086802B
	v_mfma_i32_16x16x32_i8 v[52:55], a[34:35], a[2:3], v[52:55]// 000000007B14: D3D70034 1CD20522
	v_mfma_i32_16x16x32_i8 v[52:55], a[36:37], a[4:5], v[52:55]// 000000007B1C: D3D70034 1CD20924
	v_mfma_i32_16x16x32_i8 v[52:55], a[38:39], a[6:7], v[52:55]// 000000007B24: D3D70034 1CD20D26
	v_mfma_i32_16x16x32_i8 v[60:63], a[40:41], a[0:1], v[60:63]// 000000007B2C: D3D7003C 1CF20128
	buffer_load_dwordx4 a[132:135], v43, s[24:27], 0 offen offset:1024// 000000007B34: E05C1400 8086842B
	v_mfma_i32_16x16x32_i8 v[60:63], a[42:43], a[2:3], v[60:63]// 000000007B3C: D3D7003C 1CF2052A
	v_mfma_i32_16x16x32_i8 v[60:63], a[44:45], a[4:5], v[60:63]// 000000007B44: D3D7003C 1CF2092C
	v_mfma_i32_16x16x32_i8 v[60:63], a[46:47], a[6:7], v[60:63]// 000000007B4C: D3D7003C 1CF20D2E
	v_mfma_i32_16x16x32_i8 v[68:71], a[48:49], a[0:1], v[68:71]// 000000007B54: D3D70044 1D120130
	buffer_load_dwordx4 a[136:139], v44, s[24:27], 0 offen     // 000000007B5C: E05C1000 8086882C
	v_mfma_i32_16x16x32_i8 v[68:71], a[50:51], a[2:3], v[68:71]// 000000007B64: D3D70044 1D120532
	v_mfma_i32_16x16x32_i8 v[68:71], a[52:53], a[4:5], v[68:71]// 000000007B6C: D3D70044 1D120934
	v_mfma_i32_16x16x32_i8 v[68:71], a[54:55], a[6:7], v[68:71]// 000000007B74: D3D70044 1D120D36
	v_mfma_i32_16x16x32_i8 v[76:79], a[56:57], a[0:1], v[76:79]// 000000007B7C: D3D7004C 1D320138
	buffer_load_dwordx4 a[140:143], v44, s[24:27], 0 offen offset:1024// 000000007B84: E05C1400 80868C2C
	v_mfma_i32_16x16x32_i8 v[76:79], a[58:59], a[2:3], v[76:79]// 000000007B8C: D3D7004C 1D32053A
	v_mfma_i32_16x16x32_i8 v[76:79], a[60:61], a[4:5], v[76:79]// 000000007B94: D3D7004C 1D32093C
	v_mfma_i32_16x16x32_i8 v[76:79], a[62:63], a[6:7], v[76:79]// 000000007B9C: D3D7004C 1D320D3E
	v_mfma_i32_16x16x32_i8 v[84:87], a[64:65], a[0:1], v[84:87]// 000000007BA4: D3D70054 1D520140
	buffer_load_dwordx4 a[144:147], v45, s[24:27], 0 offen     // 000000007BAC: E05C1000 8086902D
	v_mfma_i32_16x16x32_i8 v[84:87], a[66:67], a[2:3], v[84:87]// 000000007BB4: D3D70054 1D520542
	v_mfma_i32_16x16x32_i8 v[84:87], a[68:69], a[4:5], v[84:87]// 000000007BBC: D3D70054 1D520944
	v_mfma_i32_16x16x32_i8 v[84:87], a[70:71], a[6:7], v[84:87]// 000000007BC4: D3D70054 1D520D46
	v_mfma_i32_16x16x32_i8 v[92:95], a[72:73], a[0:1], v[92:95]// 000000007BCC: D3D7005C 1D720148
	buffer_load_dwordx4 a[148:151], v45, s[24:27], 0 offen offset:1024// 000000007BD4: E05C1400 8086942D
	v_mfma_i32_16x16x32_i8 v[92:95], a[74:75], a[2:3], v[92:95]// 000000007BDC: D3D7005C 1D72054A
	v_mfma_i32_16x16x32_i8 v[92:95], a[76:77], a[4:5], v[92:95]// 000000007BE4: D3D7005C 1D72094C
	v_mfma_i32_16x16x32_i8 v[92:95], a[78:79], a[6:7], v[92:95]// 000000007BEC: D3D7005C 1D720D4E
	v_mfma_i32_16x16x32_i8 v[56:59], a[32:33], a[8:9], v[56:59]// 000000007BF4: D3D70038 1CE21120
	buffer_load_dwordx4 a[152:155], v46, s[24:27], 0 offen     // 000000007BFC: E05C1000 8086982E
	v_mfma_i32_16x16x32_i8 v[56:59], a[34:35], a[10:11], v[56:59]// 000000007C04: D3D70038 1CE21522
	v_mfma_i32_16x16x32_i8 v[56:59], a[36:37], a[12:13], v[56:59]// 000000007C0C: D3D70038 1CE21924
	v_mfma_i32_16x16x32_i8 v[56:59], a[38:39], a[14:15], v[56:59]// 000000007C14: D3D70038 1CE21D26
	v_mfma_i32_16x16x32_i8 v[64:67], a[40:41], a[8:9], v[64:67]// 000000007C1C: D3D70040 1D021128
	buffer_load_dwordx4 a[156:159], v46, s[24:27], 0 offen offset:1024// 000000007C24: E05C1400 80869C2E
	v_mfma_i32_16x16x32_i8 v[64:67], a[42:43], a[10:11], v[64:67]// 000000007C2C: D3D70040 1D02152A
	v_mfma_i32_16x16x32_i8 v[64:67], a[44:45], a[12:13], v[64:67]// 000000007C34: D3D70040 1D02192C
	v_mfma_i32_16x16x32_i8 v[64:67], a[46:47], a[14:15], v[64:67]// 000000007C3C: D3D70040 1D021D2E
	v_mfma_i32_16x16x32_i8 v[72:75], a[48:49], a[8:9], v[72:75]// 000000007C44: D3D70048 1D221130
	buffer_load_dwordx4 a[160:163], v47, s[24:27], 0 offen     // 000000007C4C: E05C1000 8086A02F
	v_mfma_i32_16x16x32_i8 v[72:75], a[50:51], a[10:11], v[72:75]// 000000007C54: D3D70048 1D221532
	v_mfma_i32_16x16x32_i8 v[72:75], a[52:53], a[12:13], v[72:75]// 000000007C5C: D3D70048 1D221934
	v_mfma_i32_16x16x32_i8 v[72:75], a[54:55], a[14:15], v[72:75]// 000000007C64: D3D70048 1D221D36
	v_mfma_i32_16x16x32_i8 v[80:83], a[56:57], a[8:9], v[80:83]// 000000007C6C: D3D70050 1D421138
	buffer_load_dwordx4 a[164:167], v47, s[24:27], 0 offen offset:1024// 000000007C74: E05C1400 8086A42F
	v_mfma_i32_16x16x32_i8 v[80:83], a[58:59], a[10:11], v[80:83]// 000000007C7C: D3D70050 1D42153A
	v_mfma_i32_16x16x32_i8 v[80:83], a[60:61], a[12:13], v[80:83]// 000000007C84: D3D70050 1D42193C
	v_mfma_i32_16x16x32_i8 v[80:83], a[62:63], a[14:15], v[80:83]// 000000007C8C: D3D70050 1D421D3E
	v_mfma_i32_16x16x32_i8 v[88:91], a[64:65], a[8:9], v[88:91]// 000000007C94: D3D70058 1D621140
	buffer_load_dwordx4 a[168:171], v48, s[24:27], 0 offen     // 000000007C9C: E05C1000 8086A830
	v_mfma_i32_16x16x32_i8 v[88:91], a[66:67], a[10:11], v[88:91]// 000000007CA4: D3D70058 1D621542
	v_mfma_i32_16x16x32_i8 v[88:91], a[68:69], a[12:13], v[88:91]// 000000007CAC: D3D70058 1D621944
	v_mfma_i32_16x16x32_i8 v[88:91], a[70:71], a[14:15], v[88:91]// 000000007CB4: D3D70058 1D621D46
	v_mfma_i32_16x16x32_i8 v[96:99], a[72:73], a[8:9], v[96:99]// 000000007CBC: D3D70060 1D821148
	buffer_load_dwordx4 a[172:175], v48, s[24:27], 0 offen offset:1024// 000000007CC4: E05C1400 8086AC30
	buffer_load_dword v39, s[20:23], 0 offen lds               // 000000007CCC: E0511000 80050027
	s_add_u32 m0, 0x100, s50                                   // 000000007CD4: 807C32FF 00000100
	v_mfma_i32_16x16x32_i8 v[96:99], a[74:75], a[10:11], v[96:99]// 000000007CDC: D3D70060 1D82154A
	v_mfma_i32_16x16x32_i8 v[96:99], a[76:77], a[12:13], v[96:99]// 000000007CE4: D3D70060 1D82194C
	buffer_load_dword v40, s[20:23], 0 offen lds               // 000000007CEC: E0511000 80050028
	s_add_u32 m0, 0x200, s50                                   // 000000007CF4: 807C32FF 00000200
	v_mfma_i32_16x16x32_i8 v[96:99], a[78:79], a[14:15], v[96:99]// 000000007CFC: D3D70060 1D821D4E
	buffer_load_dword v41, s[20:23], 0 offen lds               // 000000007D04: E0511000 80050029
	s_add_u32 m0, 0x300, s50                                   // 000000007D0C: 807C32FF 00000300
	buffer_load_dword v42, s[20:23], 0 offen lds               // 000000007D14: E0511000 8005002A
	s_add_u32 m0, 0, s48                                       // 000000007D1C: 807C3080
	s_waitcnt vmcnt(16)                                        // 000000007D20: BF8C4F70
	s_barrier                                                  // 000000007D24: BF8A0000
	v_mfma_i32_16x16x32_i8 v[100:103], a[80:81], a[0:1], v[100:103]// 000000007D28: D3D70064 1D920150
	buffer_load_dwordx4 a[32:35], v43, s[84:87], 0 offen       // 000000007D30: E05C1000 8095202B
	v_mfma_i32_16x16x32_i8 v[100:103], a[82:83], a[2:3], v[100:103]// 000000007D38: D3D70064 1D920552
	v_mfma_i32_16x16x32_i8 v[100:103], a[84:85], a[4:5], v[100:103]// 000000007D40: D3D70064 1D920954
	ds_read_b128 a[16:19], v2 offset:4224                      // 000000007D48: DBFE1080 10000002
	ds_read_b128 a[20:23], v2 offset:4288                      // 000000007D50: DBFE10C0 14000002
	v_mfma_i32_16x16x32_i8 v[100:103], a[86:87], a[6:7], v[100:103]// 000000007D58: D3D70064 1D920D56
	v_mfma_i32_16x16x32_i8 v[108:111], a[88:89], a[0:1], v[108:111]// 000000007D60: D3D7006C 1DB20158
	buffer_load_dwordx4 a[36:39], v43, s[84:87], 0 offen offset:1024// 000000007D68: E05C1400 8095242B
	v_mfma_i32_16x16x32_i8 v[108:111], a[90:91], a[2:3], v[108:111]// 000000007D70: D3D7006C 1DB2055A
	v_mfma_i32_16x16x32_i8 v[108:111], a[92:93], a[4:5], v[108:111]// 000000007D78: D3D7006C 1DB2095C
	ds_read_b128 a[24:27], v2 offset:4736                      // 000000007D80: DBFE1280 18000002
	ds_read_b128 a[28:31], v2 offset:4800                      // 000000007D88: DBFE12C0 1C000002
	v_mfma_i32_16x16x32_i8 v[108:111], a[94:95], a[6:7], v[108:111]// 000000007D90: D3D7006C 1DB20D5E
	v_mfma_i32_16x16x32_i8 v[116:119], a[96:97], a[0:1], v[116:119]// 000000007D98: D3D70074 1DD20160
	buffer_load_dwordx4 a[40:43], v44, s[84:87], 0 offen       // 000000007DA0: E05C1000 8095282C
	v_mfma_i32_16x16x32_i8 v[116:119], a[98:99], a[2:3], v[116:119]// 000000007DA8: D3D70074 1DD20562
	v_mfma_i32_16x16x32_i8 v[116:119], a[100:101], a[4:5], v[116:119]// 000000007DB0: D3D70074 1DD20964
	v_mfma_i32_16x16x32_i8 v[116:119], a[102:103], a[6:7], v[116:119]// 000000007DB8: D3D70074 1DD20D66
	v_mfma_i32_16x16x32_i8 v[124:127], a[104:105], a[0:1], v[124:127]// 000000007DC0: D3D7007C 1DF20168
	buffer_load_dwordx4 a[44:47], v44, s[84:87], 0 offen offset:1024// 000000007DC8: E05C1400 80952C2C
	v_mfma_i32_16x16x32_i8 v[124:127], a[106:107], a[2:3], v[124:127]// 000000007DD0: D3D7007C 1DF2056A
	v_mfma_i32_16x16x32_i8 v[124:127], a[108:109], a[4:5], v[124:127]// 000000007DD8: D3D7007C 1DF2096C
	v_mfma_i32_16x16x32_i8 v[124:127], a[110:111], a[6:7], v[124:127]// 000000007DE0: D3D7007C 1DF20D6E
	v_mfma_i32_16x16x32_i8 v[132:135], a[112:113], a[0:1], v[132:135]// 000000007DE8: D3D70084 1E120170
	buffer_load_dwordx4 a[48:51], v45, s[84:87], 0 offen       // 000000007DF0: E05C1000 8095302D
	v_mfma_i32_16x16x32_i8 v[132:135], a[114:115], a[2:3], v[132:135]// 000000007DF8: D3D70084 1E120572
	v_mfma_i32_16x16x32_i8 v[132:135], a[116:117], a[4:5], v[132:135]// 000000007E00: D3D70084 1E120974
	v_mfma_i32_16x16x32_i8 v[132:135], a[118:119], a[6:7], v[132:135]// 000000007E08: D3D70084 1E120D76
	v_mfma_i32_16x16x32_i8 v[140:143], a[120:121], a[0:1], v[140:143]// 000000007E10: D3D7008C 1E320178
	buffer_load_dwordx4 a[52:55], v45, s[84:87], 0 offen offset:1024// 000000007E18: E05C1400 8095342D
	v_mfma_i32_16x16x32_i8 v[140:143], a[122:123], a[2:3], v[140:143]// 000000007E20: D3D7008C 1E32057A
	v_mfma_i32_16x16x32_i8 v[140:143], a[124:125], a[4:5], v[140:143]// 000000007E28: D3D7008C 1E32097C
	v_mfma_i32_16x16x32_i8 v[140:143], a[126:127], a[6:7], v[140:143]// 000000007E30: D3D7008C 1E320D7E
	v_mfma_i32_16x16x32_i8 v[104:107], a[80:81], a[8:9], v[104:107]// 000000007E38: D3D70068 1DA21150
	buffer_load_dwordx4 a[56:59], v46, s[84:87], 0 offen       // 000000007E40: E05C1000 8095382E
	v_mfma_i32_16x16x32_i8 v[104:107], a[82:83], a[10:11], v[104:107]// 000000007E48: D3D70068 1DA21552
	v_mfma_i32_16x16x32_i8 v[104:107], a[84:85], a[12:13], v[104:107]// 000000007E50: D3D70068 1DA21954
	v_mfma_i32_16x16x32_i8 v[104:107], a[86:87], a[14:15], v[104:107]// 000000007E58: D3D70068 1DA21D56
	v_mfma_i32_16x16x32_i8 v[112:115], a[88:89], a[8:9], v[112:115]// 000000007E60: D3D70070 1DC21158
	buffer_load_dwordx4 a[60:63], v46, s[84:87], 0 offen offset:1024// 000000007E68: E05C1400 80953C2E
	v_mfma_i32_16x16x32_i8 v[112:115], a[90:91], a[10:11], v[112:115]// 000000007E70: D3D70070 1DC2155A
	v_mfma_i32_16x16x32_i8 v[112:115], a[92:93], a[12:13], v[112:115]// 000000007E78: D3D70070 1DC2195C
	v_mfma_i32_16x16x32_i8 v[112:115], a[94:95], a[14:15], v[112:115]// 000000007E80: D3D70070 1DC21D5E
	v_mfma_i32_16x16x32_i8 v[120:123], a[96:97], a[8:9], v[120:123]// 000000007E88: D3D70078 1DE21160
	buffer_load_dwordx4 a[64:67], v47, s[84:87], 0 offen       // 000000007E90: E05C1000 8095402F
	v_mfma_i32_16x16x32_i8 v[120:123], a[98:99], a[10:11], v[120:123]// 000000007E98: D3D70078 1DE21562
	v_mfma_i32_16x16x32_i8 v[120:123], a[100:101], a[12:13], v[120:123]// 000000007EA0: D3D70078 1DE21964
	v_mfma_i32_16x16x32_i8 v[120:123], a[102:103], a[14:15], v[120:123]// 000000007EA8: D3D70078 1DE21D66
	v_mfma_i32_16x16x32_i8 v[128:131], a[104:105], a[8:9], v[128:131]// 000000007EB0: D3D70080 1E021168
	buffer_load_dwordx4 a[68:71], v47, s[84:87], 0 offen offset:1024// 000000007EB8: E05C1400 8095442F
	v_mfma_i32_16x16x32_i8 v[128:131], a[106:107], a[10:11], v[128:131]// 000000007EC0: D3D70080 1E02156A
	v_mfma_i32_16x16x32_i8 v[128:131], a[108:109], a[12:13], v[128:131]// 000000007EC8: D3D70080 1E02196C
	v_mfma_i32_16x16x32_i8 v[128:131], a[110:111], a[14:15], v[128:131]// 000000007ED0: D3D70080 1E021D6E
	v_mfma_i32_16x16x32_i8 v[136:139], a[112:113], a[8:9], v[136:139]// 000000007ED8: D3D70088 1E221170
	buffer_load_dwordx4 a[72:75], v48, s[84:87], 0 offen       // 000000007EE0: E05C1000 80954830
	s_add_u32 s60, 0x180, s80                                  // 000000007EE8: 803C50FF 00000180
	s_cmp_lt_u32 s60, s81                                      // 000000007EF0: BF0A513C
	s_cselect_b32 s57, s57, 0                                  // 000000007EF4: 85398039
	v_mfma_i32_16x16x32_i8 v[136:139], a[114:115], a[10:11], v[136:139]// 000000007EF8: D3D70088 1E221572
	s_add_u32 s60, 0x100, s80                                  // 000000007F00: 803C50FF 00000100
	s_cmp_lt_u32 s60, s81                                      // 000000007F08: BF0A513C
	s_cselect_b32 s58, s58, 0                                  // 000000007F0C: 853A803A
	v_mfma_i32_16x16x32_i8 v[136:139], a[116:117], a[12:13], v[136:139]// 000000007F10: D3D70088 1E221974
	s_add_u32 s60, 0x100, s80                                  // 000000007F18: 803C50FF 00000100
	s_cmp_lt_u32 s60, s81                                      // 000000007F20: BF0A513C
	s_cselect_b32 s83, s83, 0                                  // 000000007F24: 85538053
	v_mfma_i32_16x16x32_i8 v[136:139], a[118:119], a[14:15], v[136:139]// 000000007F28: D3D70088 1E221D76
	s_add_u32 s24, s58, s24                                    // 000000007F30: 8018183A
	s_addc_u32 s25, 0, s25                                     // 000000007F34: 82191980
	v_mfma_i32_16x16x32_i8 v[144:147], a[120:121], a[8:9], v[144:147]// 000000007F38: D3D70090 1E421178
	buffer_load_dwordx4 a[76:79], v48, s[84:87], 0 offen offset:1024// 000000007F40: E05C1400 80954C30
	s_add_u32 s20, s57, s20                                    // 000000007F48: 80141439
	s_addc_u32 s21, 0, s21                                     // 000000007F4C: 82151580
	v_mfma_i32_16x16x32_i8 v[144:147], a[122:123], a[10:11], v[144:147]// 000000007F50: D3D70090 1E42157A
	s_add_u32 s84, s83, s84                                    // 000000007F58: 80545453
	s_addc_u32 s85, 0, s85                                     // 000000007F5C: 82555580
	v_mfma_i32_16x16x32_i8 v[144:147], a[124:125], a[12:13], v[144:147]// 000000007F60: D3D70090 1E42197C
	v_mfma_i32_16x16x32_i8 v[144:147], a[126:127], a[14:15], v[144:147]// 000000007F68: D3D70090 1E421D7E
	s_addk_i32 s80, 0x80                                       // 000000007F70: B7500080
	s_cmp_lt_i32 s80, s81                                      // 000000007F74: BF045150
	s_cbranch_scc0 label_1A7E                                  // 000000007F78: BF84059C
	s_waitcnt vmcnt(16) lgkmcnt(0)                             // 000000007F7C: BF8C4070
	v_mfma_i32_16x16x32_i8 v[52:55], a[128:129], a[16:17], v[52:55]// 000000007F80: D3D70034 1CD22180
	buffer_load_dwordx4 a[80:83], v43, s[24:27], 0 offen       // 000000007F88: E05C1000 8086502B
	v_mfma_i32_16x16x32_i8 v[52:55], a[130:131], a[18:19], v[52:55]// 000000007F90: D3D70034 1CD22582
	v_mfma_i32_16x16x32_i8 v[52:55], a[132:133], a[20:21], v[52:55]// 000000007F98: D3D70034 1CD22984
	v_mfma_i32_16x16x32_i8 v[52:55], a[134:135], a[22:23], v[52:55]// 000000007FA0: D3D70034 1CD22D86
	v_mfma_i32_16x16x32_i8 v[60:63], a[136:137], a[16:17], v[60:63]// 000000007FA8: D3D7003C 1CF22188
	buffer_load_dwordx4 a[84:87], v43, s[24:27], 0 offen offset:1024// 000000007FB0: E05C1400 8086542B
	v_mfma_i32_16x16x32_i8 v[60:63], a[138:139], a[18:19], v[60:63]// 000000007FB8: D3D7003C 1CF2258A
	v_mfma_i32_16x16x32_i8 v[60:63], a[140:141], a[20:21], v[60:63]// 000000007FC0: D3D7003C 1CF2298C
	v_mfma_i32_16x16x32_i8 v[60:63], a[142:143], a[22:23], v[60:63]// 000000007FC8: D3D7003C 1CF22D8E
	v_mfma_i32_16x16x32_i8 v[68:71], a[144:145], a[16:17], v[68:71]// 000000007FD0: D3D70044 1D122190
	buffer_load_dwordx4 a[88:91], v44, s[24:27], 0 offen       // 000000007FD8: E05C1000 8086582C
	v_mfma_i32_16x16x32_i8 v[68:71], a[146:147], a[18:19], v[68:71]// 000000007FE0: D3D70044 1D122592
	v_mfma_i32_16x16x32_i8 v[68:71], a[148:149], a[20:21], v[68:71]// 000000007FE8: D3D70044 1D122994
	v_mfma_i32_16x16x32_i8 v[68:71], a[150:151], a[22:23], v[68:71]// 000000007FF0: D3D70044 1D122D96
	v_mfma_i32_16x16x32_i8 v[76:79], a[152:153], a[16:17], v[76:79]// 000000007FF8: D3D7004C 1D322198
	buffer_load_dwordx4 a[92:95], v44, s[24:27], 0 offen offset:1024// 000000008000: E05C1400 80865C2C
	v_mfma_i32_16x16x32_i8 v[76:79], a[154:155], a[18:19], v[76:79]// 000000008008: D3D7004C 1D32259A
	v_mfma_i32_16x16x32_i8 v[76:79], a[156:157], a[20:21], v[76:79]// 000000008010: D3D7004C 1D32299C
	v_mfma_i32_16x16x32_i8 v[76:79], a[158:159], a[22:23], v[76:79]// 000000008018: D3D7004C 1D322D9E
	v_mfma_i32_16x16x32_i8 v[84:87], a[160:161], a[16:17], v[84:87]// 000000008020: D3D70054 1D5221A0
	buffer_load_dwordx4 a[96:99], v45, s[24:27], 0 offen       // 000000008028: E05C1000 8086602D
	v_mfma_i32_16x16x32_i8 v[84:87], a[162:163], a[18:19], v[84:87]// 000000008030: D3D70054 1D5225A2
	v_mfma_i32_16x16x32_i8 v[84:87], a[164:165], a[20:21], v[84:87]// 000000008038: D3D70054 1D5229A4
	v_mfma_i32_16x16x32_i8 v[84:87], a[166:167], a[22:23], v[84:87]// 000000008040: D3D70054 1D522DA6
	v_mfma_i32_16x16x32_i8 v[92:95], a[168:169], a[16:17], v[92:95]// 000000008048: D3D7005C 1D7221A8
	buffer_load_dwordx4 a[100:103], v45, s[24:27], 0 offen offset:1024// 000000008050: E05C1400 8086642D
	v_mfma_i32_16x16x32_i8 v[92:95], a[170:171], a[18:19], v[92:95]// 000000008058: D3D7005C 1D7225AA
	v_mfma_i32_16x16x32_i8 v[92:95], a[172:173], a[20:21], v[92:95]// 000000008060: D3D7005C 1D7229AC
	v_mfma_i32_16x16x32_i8 v[92:95], a[174:175], a[22:23], v[92:95]// 000000008068: D3D7005C 1D722DAE
	v_mfma_i32_16x16x32_i8 v[56:59], a[128:129], a[24:25], v[56:59]// 000000008070: D3D70038 1CE23180
	buffer_load_dwordx4 a[104:107], v46, s[24:27], 0 offen     // 000000008078: E05C1000 8086682E
	v_mfma_i32_16x16x32_i8 v[56:59], a[130:131], a[26:27], v[56:59]// 000000008080: D3D70038 1CE23582
	v_mfma_i32_16x16x32_i8 v[56:59], a[132:133], a[28:29], v[56:59]// 000000008088: D3D70038 1CE23984
	v_mfma_i32_16x16x32_i8 v[56:59], a[134:135], a[30:31], v[56:59]// 000000008090: D3D70038 1CE23D86
	v_mfma_i32_16x16x32_i8 v[64:67], a[136:137], a[24:25], v[64:67]// 000000008098: D3D70040 1D023188
	buffer_load_dwordx4 a[108:111], v46, s[24:27], 0 offen offset:1024// 0000000080A0: E05C1400 80866C2E
	v_mfma_i32_16x16x32_i8 v[64:67], a[138:139], a[26:27], v[64:67]// 0000000080A8: D3D70040 1D02358A
	v_mfma_i32_16x16x32_i8 v[64:67], a[140:141], a[28:29], v[64:67]// 0000000080B0: D3D70040 1D02398C
	v_mfma_i32_16x16x32_i8 v[64:67], a[142:143], a[30:31], v[64:67]// 0000000080B8: D3D70040 1D023D8E
	v_mfma_i32_16x16x32_i8 v[72:75], a[144:145], a[24:25], v[72:75]// 0000000080C0: D3D70048 1D223190
	buffer_load_dwordx4 a[112:115], v47, s[24:27], 0 offen     // 0000000080C8: E05C1000 8086702F
	v_mfma_i32_16x16x32_i8 v[72:75], a[146:147], a[26:27], v[72:75]// 0000000080D0: D3D70048 1D223592
	v_mfma_i32_16x16x32_i8 v[72:75], a[148:149], a[28:29], v[72:75]// 0000000080D8: D3D70048 1D223994
	v_mfma_i32_16x16x32_i8 v[72:75], a[150:151], a[30:31], v[72:75]// 0000000080E0: D3D70048 1D223D96
	v_mfma_i32_16x16x32_i8 v[80:83], a[152:153], a[24:25], v[80:83]// 0000000080E8: D3D70050 1D423198
	buffer_load_dwordx4 a[116:119], v47, s[24:27], 0 offen offset:1024// 0000000080F0: E05C1400 8086742F
	v_mfma_i32_16x16x32_i8 v[80:83], a[154:155], a[26:27], v[80:83]// 0000000080F8: D3D70050 1D42359A
	v_mfma_i32_16x16x32_i8 v[80:83], a[156:157], a[28:29], v[80:83]// 000000008100: D3D70050 1D42399C
	v_mfma_i32_16x16x32_i8 v[80:83], a[158:159], a[30:31], v[80:83]// 000000008108: D3D70050 1D423D9E
	v_mfma_i32_16x16x32_i8 v[88:91], a[160:161], a[24:25], v[88:91]// 000000008110: D3D70058 1D6231A0
	buffer_load_dwordx4 a[120:123], v48, s[24:27], 0 offen     // 000000008118: E05C1000 80867830
	v_mfma_i32_16x16x32_i8 v[88:91], a[162:163], a[26:27], v[88:91]// 000000008120: D3D70058 1D6235A2
	v_mfma_i32_16x16x32_i8 v[88:91], a[164:165], a[28:29], v[88:91]// 000000008128: D3D70058 1D6239A4
	v_mfma_i32_16x16x32_i8 v[88:91], a[166:167], a[30:31], v[88:91]// 000000008130: D3D70058 1D623DA6
	v_mfma_i32_16x16x32_i8 v[96:99], a[168:169], a[24:25], v[96:99]// 000000008138: D3D70060 1D8231A8
	buffer_load_dwordx4 a[124:127], v48, s[24:27], 0 offen offset:1024// 000000008140: E05C1400 80867C30
	buffer_load_dword v39, s[20:23], 0 offen lds               // 000000008148: E0511000 80050027
	s_add_u32 m0, 0x100, s48                                   // 000000008150: 807C30FF 00000100
	v_mfma_i32_16x16x32_i8 v[96:99], a[170:171], a[26:27], v[96:99]// 000000008158: D3D70060 1D8235AA
	v_mfma_i32_16x16x32_i8 v[96:99], a[172:173], a[28:29], v[96:99]// 000000008160: D3D70060 1D8239AC
	buffer_load_dword v40, s[20:23], 0 offen lds               // 000000008168: E0511000 80050028
	s_add_u32 m0, 0x200, s48                                   // 000000008170: 807C30FF 00000200
	v_mfma_i32_16x16x32_i8 v[96:99], a[174:175], a[30:31], v[96:99]// 000000008178: D3D70060 1D823DAE
	buffer_load_dword v41, s[20:23], 0 offen lds               // 000000008180: E0511000 80050029
	s_add_u32 m0, 0x300, s48                                   // 000000008188: 807C30FF 00000300
	buffer_load_dword v42, s[20:23], 0 offen lds               // 000000008190: E0511000 8005002A
	s_add_u32 m0, 0, s49                                       // 000000008198: 807C3180
	s_waitcnt vmcnt(16)                                        // 00000000819C: BF8C4F70
	s_barrier                                                  // 0000000081A0: BF8A0000
	v_mfma_i32_16x16x32_i8 v[100:103], a[32:33], a[16:17], v[100:103]// 0000000081A4: D3D70064 1D922120
	buffer_load_dwordx4 a[128:131], v43, s[84:87], 0 offen     // 0000000081AC: E05C1000 8095802B
	v_mfma_i32_16x16x32_i8 v[100:103], a[34:35], a[18:19], v[100:103]// 0000000081B4: D3D70064 1D922522
	v_mfma_i32_16x16x32_i8 v[100:103], a[36:37], a[20:21], v[100:103]// 0000000081BC: D3D70064 1D922924
	ds_read_b128 a[0:3], v2 offset:8448                        // 0000000081C4: DBFE2100 00000002
	ds_read_b128 a[4:7], v2 offset:8512                        // 0000000081CC: DBFE2140 04000002
	v_mfma_i32_16x16x32_i8 v[100:103], a[38:39], a[22:23], v[100:103]// 0000000081D4: D3D70064 1D922D26
	v_mfma_i32_16x16x32_i8 v[108:111], a[40:41], a[16:17], v[108:111]// 0000000081DC: D3D7006C 1DB22128
	buffer_load_dwordx4 a[132:135], v43, s[84:87], 0 offen offset:1024// 0000000081E4: E05C1400 8095842B
	v_mfma_i32_16x16x32_i8 v[108:111], a[42:43], a[18:19], v[108:111]// 0000000081EC: D3D7006C 1DB2252A
	v_mfma_i32_16x16x32_i8 v[108:111], a[44:45], a[20:21], v[108:111]// 0000000081F4: D3D7006C 1DB2292C
	ds_read_b128 a[8:11], v2 offset:8960                       // 0000000081FC: DBFE2300 08000002
	ds_read_b128 a[12:15], v2 offset:9024                      // 000000008204: DBFE2340 0C000002
	v_mfma_i32_16x16x32_i8 v[108:111], a[46:47], a[22:23], v[108:111]// 00000000820C: D3D7006C 1DB22D2E
	v_mfma_i32_16x16x32_i8 v[116:119], a[48:49], a[16:17], v[116:119]// 000000008214: D3D70074 1DD22130
	buffer_load_dwordx4 a[136:139], v44, s[84:87], 0 offen     // 00000000821C: E05C1000 8095882C
	v_mfma_i32_16x16x32_i8 v[116:119], a[50:51], a[18:19], v[116:119]// 000000008224: D3D70074 1DD22532
	v_mfma_i32_16x16x32_i8 v[116:119], a[52:53], a[20:21], v[116:119]// 00000000822C: D3D70074 1DD22934
	v_mfma_i32_16x16x32_i8 v[116:119], a[54:55], a[22:23], v[116:119]// 000000008234: D3D70074 1DD22D36
	v_mfma_i32_16x16x32_i8 v[124:127], a[56:57], a[16:17], v[124:127]// 00000000823C: D3D7007C 1DF22138
	buffer_load_dwordx4 a[140:143], v44, s[84:87], 0 offen offset:1024// 000000008244: E05C1400 80958C2C
	v_mfma_i32_16x16x32_i8 v[124:127], a[58:59], a[18:19], v[124:127]// 00000000824C: D3D7007C 1DF2253A
	v_mfma_i32_16x16x32_i8 v[124:127], a[60:61], a[20:21], v[124:127]// 000000008254: D3D7007C 1DF2293C
	v_mfma_i32_16x16x32_i8 v[124:127], a[62:63], a[22:23], v[124:127]// 00000000825C: D3D7007C 1DF22D3E
	v_mfma_i32_16x16x32_i8 v[132:135], a[64:65], a[16:17], v[132:135]// 000000008264: D3D70084 1E122140
	buffer_load_dwordx4 a[144:147], v45, s[84:87], 0 offen     // 00000000826C: E05C1000 8095902D
	v_mfma_i32_16x16x32_i8 v[132:135], a[66:67], a[18:19], v[132:135]// 000000008274: D3D70084 1E122542
	v_mfma_i32_16x16x32_i8 v[132:135], a[68:69], a[20:21], v[132:135]// 00000000827C: D3D70084 1E122944
	v_mfma_i32_16x16x32_i8 v[132:135], a[70:71], a[22:23], v[132:135]// 000000008284: D3D70084 1E122D46
	v_mfma_i32_16x16x32_i8 v[140:143], a[72:73], a[16:17], v[140:143]// 00000000828C: D3D7008C 1E322148
	buffer_load_dwordx4 a[148:151], v45, s[84:87], 0 offen offset:1024// 000000008294: E05C1400 8095942D
	v_mfma_i32_16x16x32_i8 v[140:143], a[74:75], a[18:19], v[140:143]// 00000000829C: D3D7008C 1E32254A
	v_mfma_i32_16x16x32_i8 v[140:143], a[76:77], a[20:21], v[140:143]// 0000000082A4: D3D7008C 1E32294C
	v_mfma_i32_16x16x32_i8 v[140:143], a[78:79], a[22:23], v[140:143]// 0000000082AC: D3D7008C 1E322D4E
	v_mfma_i32_16x16x32_i8 v[104:107], a[32:33], a[24:25], v[104:107]// 0000000082B4: D3D70068 1DA23120
	buffer_load_dwordx4 a[152:155], v46, s[84:87], 0 offen     // 0000000082BC: E05C1000 8095982E
	v_mfma_i32_16x16x32_i8 v[104:107], a[34:35], a[26:27], v[104:107]// 0000000082C4: D3D70068 1DA23522
	v_mfma_i32_16x16x32_i8 v[104:107], a[36:37], a[28:29], v[104:107]// 0000000082CC: D3D70068 1DA23924
	v_mfma_i32_16x16x32_i8 v[104:107], a[38:39], a[30:31], v[104:107]// 0000000082D4: D3D70068 1DA23D26
	v_mfma_i32_16x16x32_i8 v[112:115], a[40:41], a[24:25], v[112:115]// 0000000082DC: D3D70070 1DC23128
	buffer_load_dwordx4 a[156:159], v46, s[84:87], 0 offen offset:1024// 0000000082E4: E05C1400 80959C2E
	v_mfma_i32_16x16x32_i8 v[112:115], a[42:43], a[26:27], v[112:115]// 0000000082EC: D3D70070 1DC2352A
	v_mfma_i32_16x16x32_i8 v[112:115], a[44:45], a[28:29], v[112:115]// 0000000082F4: D3D70070 1DC2392C
	v_mfma_i32_16x16x32_i8 v[112:115], a[46:47], a[30:31], v[112:115]// 0000000082FC: D3D70070 1DC23D2E
	v_mfma_i32_16x16x32_i8 v[120:123], a[48:49], a[24:25], v[120:123]// 000000008304: D3D70078 1DE23130
	buffer_load_dwordx4 a[160:163], v47, s[84:87], 0 offen     // 00000000830C: E05C1000 8095A02F
	v_mfma_i32_16x16x32_i8 v[120:123], a[50:51], a[26:27], v[120:123]// 000000008314: D3D70078 1DE23532
	v_mfma_i32_16x16x32_i8 v[120:123], a[52:53], a[28:29], v[120:123]// 00000000831C: D3D70078 1DE23934
	v_mfma_i32_16x16x32_i8 v[120:123], a[54:55], a[30:31], v[120:123]// 000000008324: D3D70078 1DE23D36
	v_mfma_i32_16x16x32_i8 v[128:131], a[56:57], a[24:25], v[128:131]// 00000000832C: D3D70080 1E023138
	buffer_load_dwordx4 a[164:167], v47, s[84:87], 0 offen offset:1024// 000000008334: E05C1400 8095A42F
	v_mfma_i32_16x16x32_i8 v[128:131], a[58:59], a[26:27], v[128:131]// 00000000833C: D3D70080 1E02353A
	v_mfma_i32_16x16x32_i8 v[128:131], a[60:61], a[28:29], v[128:131]// 000000008344: D3D70080 1E02393C
	v_mfma_i32_16x16x32_i8 v[128:131], a[62:63], a[30:31], v[128:131]// 00000000834C: D3D70080 1E023D3E
	v_mfma_i32_16x16x32_i8 v[136:139], a[64:65], a[24:25], v[136:139]// 000000008354: D3D70088 1E223140
	buffer_load_dwordx4 a[168:171], v48, s[84:87], 0 offen     // 00000000835C: E05C1000 8095A830
	s_add_u32 s60, 0x180, s80                                  // 000000008364: 803C50FF 00000180
	s_cmp_lt_u32 s60, s81                                      // 00000000836C: BF0A513C
	s_cselect_b32 s57, s57, 0                                  // 000000008370: 85398039
	v_mfma_i32_16x16x32_i8 v[136:139], a[66:67], a[26:27], v[136:139]// 000000008374: D3D70088 1E223542
	s_add_u32 s60, 0x100, s80                                  // 00000000837C: 803C50FF 00000100
	s_cmp_lt_u32 s60, s81                                      // 000000008384: BF0A513C
	s_cselect_b32 s58, s58, 0                                  // 000000008388: 853A803A
	v_mfma_i32_16x16x32_i8 v[136:139], a[68:69], a[28:29], v[136:139]// 00000000838C: D3D70088 1E223944
	s_add_u32 s60, 0x100, s80                                  // 000000008394: 803C50FF 00000100
	s_cmp_lt_u32 s60, s81                                      // 00000000839C: BF0A513C
	s_cselect_b32 s83, s83, 0                                  // 0000000083A0: 85538053
	v_mfma_i32_16x16x32_i8 v[136:139], a[70:71], a[30:31], v[136:139]// 0000000083A4: D3D70088 1E223D46
	s_add_u32 s24, s58, s24                                    // 0000000083AC: 8018183A
	s_addc_u32 s25, 0, s25                                     // 0000000083B0: 82191980
	v_mfma_i32_16x16x32_i8 v[144:147], a[72:73], a[24:25], v[144:147]// 0000000083B4: D3D70090 1E423148
	buffer_load_dwordx4 a[172:175], v48, s[84:87], 0 offen offset:1024// 0000000083BC: E05C1400 8095AC30
	s_add_u32 s20, s57, s20                                    // 0000000083C4: 80141439
	s_addc_u32 s21, 0, s21                                     // 0000000083C8: 82151580
	v_mfma_i32_16x16x32_i8 v[144:147], a[74:75], a[26:27], v[144:147]// 0000000083CC: D3D70090 1E42354A
	s_add_u32 s84, s83, s84                                    // 0000000083D4: 80545453
	s_addc_u32 s85, 0, s85                                     // 0000000083D8: 82555580
	v_mfma_i32_16x16x32_i8 v[144:147], a[76:77], a[28:29], v[144:147]// 0000000083DC: D3D70090 1E42394C
	v_mfma_i32_16x16x32_i8 v[144:147], a[78:79], a[30:31], v[144:147]// 0000000083E4: D3D70090 1E423D4E
	s_addk_i32 s80, 0x80                                       // 0000000083EC: B7500080
	s_cmp_lt_i32 s80, s81                                      // 0000000083F0: BF045150
	s_cbranch_scc0 label_1A7E                                  // 0000000083F4: BF84047D
	s_waitcnt vmcnt(16) lgkmcnt(0)                             // 0000000083F8: BF8C4070
	v_mfma_i32_16x16x32_i8 v[52:55], a[80:81], a[0:1], v[52:55]// 0000000083FC: D3D70034 1CD20150
	buffer_load_dwordx4 a[32:35], v43, s[24:27], 0 offen       // 000000008404: E05C1000 8086202B
	v_mfma_i32_16x16x32_i8 v[52:55], a[82:83], a[2:3], v[52:55]// 00000000840C: D3D70034 1CD20552
	v_mfma_i32_16x16x32_i8 v[52:55], a[84:85], a[4:5], v[52:55]// 000000008414: D3D70034 1CD20954
	v_mfma_i32_16x16x32_i8 v[52:55], a[86:87], a[6:7], v[52:55]// 00000000841C: D3D70034 1CD20D56
	v_mfma_i32_16x16x32_i8 v[60:63], a[88:89], a[0:1], v[60:63]// 000000008424: D3D7003C 1CF20158
	buffer_load_dwordx4 a[36:39], v43, s[24:27], 0 offen offset:1024// 00000000842C: E05C1400 8086242B
	v_mfma_i32_16x16x32_i8 v[60:63], a[90:91], a[2:3], v[60:63]// 000000008434: D3D7003C 1CF2055A
	v_mfma_i32_16x16x32_i8 v[60:63], a[92:93], a[4:5], v[60:63]// 00000000843C: D3D7003C 1CF2095C
	v_mfma_i32_16x16x32_i8 v[60:63], a[94:95], a[6:7], v[60:63]// 000000008444: D3D7003C 1CF20D5E
	v_mfma_i32_16x16x32_i8 v[68:71], a[96:97], a[0:1], v[68:71]// 00000000844C: D3D70044 1D120160
	buffer_load_dwordx4 a[40:43], v44, s[24:27], 0 offen       // 000000008454: E05C1000 8086282C
	v_mfma_i32_16x16x32_i8 v[68:71], a[98:99], a[2:3], v[68:71]// 00000000845C: D3D70044 1D120562
	v_mfma_i32_16x16x32_i8 v[68:71], a[100:101], a[4:5], v[68:71]// 000000008464: D3D70044 1D120964
	v_mfma_i32_16x16x32_i8 v[68:71], a[102:103], a[6:7], v[68:71]// 00000000846C: D3D70044 1D120D66
	v_mfma_i32_16x16x32_i8 v[76:79], a[104:105], a[0:1], v[76:79]// 000000008474: D3D7004C 1D320168
	buffer_load_dwordx4 a[44:47], v44, s[24:27], 0 offen offset:1024// 00000000847C: E05C1400 80862C2C
	v_mfma_i32_16x16x32_i8 v[76:79], a[106:107], a[2:3], v[76:79]// 000000008484: D3D7004C 1D32056A
	v_mfma_i32_16x16x32_i8 v[76:79], a[108:109], a[4:5], v[76:79]// 00000000848C: D3D7004C 1D32096C
	v_mfma_i32_16x16x32_i8 v[76:79], a[110:111], a[6:7], v[76:79]// 000000008494: D3D7004C 1D320D6E
	v_mfma_i32_16x16x32_i8 v[84:87], a[112:113], a[0:1], v[84:87]// 00000000849C: D3D70054 1D520170
	buffer_load_dwordx4 a[48:51], v45, s[24:27], 0 offen       // 0000000084A4: E05C1000 8086302D
	v_mfma_i32_16x16x32_i8 v[84:87], a[114:115], a[2:3], v[84:87]// 0000000084AC: D3D70054 1D520572
	v_mfma_i32_16x16x32_i8 v[84:87], a[116:117], a[4:5], v[84:87]// 0000000084B4: D3D70054 1D520974
	v_mfma_i32_16x16x32_i8 v[84:87], a[118:119], a[6:7], v[84:87]// 0000000084BC: D3D70054 1D520D76
	v_mfma_i32_16x16x32_i8 v[92:95], a[120:121], a[0:1], v[92:95]// 0000000084C4: D3D7005C 1D720178
	buffer_load_dwordx4 a[52:55], v45, s[24:27], 0 offen offset:1024// 0000000084CC: E05C1400 8086342D
	v_mfma_i32_16x16x32_i8 v[92:95], a[122:123], a[2:3], v[92:95]// 0000000084D4: D3D7005C 1D72057A
	v_mfma_i32_16x16x32_i8 v[92:95], a[124:125], a[4:5], v[92:95]// 0000000084DC: D3D7005C 1D72097C
	v_mfma_i32_16x16x32_i8 v[92:95], a[126:127], a[6:7], v[92:95]// 0000000084E4: D3D7005C 1D720D7E
	v_mfma_i32_16x16x32_i8 v[56:59], a[80:81], a[8:9], v[56:59]// 0000000084EC: D3D70038 1CE21150
	buffer_load_dwordx4 a[56:59], v46, s[24:27], 0 offen       // 0000000084F4: E05C1000 8086382E
	v_mfma_i32_16x16x32_i8 v[56:59], a[82:83], a[10:11], v[56:59]// 0000000084FC: D3D70038 1CE21552
	v_mfma_i32_16x16x32_i8 v[56:59], a[84:85], a[12:13], v[56:59]// 000000008504: D3D70038 1CE21954
	v_mfma_i32_16x16x32_i8 v[56:59], a[86:87], a[14:15], v[56:59]// 00000000850C: D3D70038 1CE21D56
	v_mfma_i32_16x16x32_i8 v[64:67], a[88:89], a[8:9], v[64:67]// 000000008514: D3D70040 1D021158
	buffer_load_dwordx4 a[60:63], v46, s[24:27], 0 offen offset:1024// 00000000851C: E05C1400 80863C2E
	v_mfma_i32_16x16x32_i8 v[64:67], a[90:91], a[10:11], v[64:67]// 000000008524: D3D70040 1D02155A
	v_mfma_i32_16x16x32_i8 v[64:67], a[92:93], a[12:13], v[64:67]// 00000000852C: D3D70040 1D02195C
	v_mfma_i32_16x16x32_i8 v[64:67], a[94:95], a[14:15], v[64:67]// 000000008534: D3D70040 1D021D5E
	v_mfma_i32_16x16x32_i8 v[72:75], a[96:97], a[8:9], v[72:75]// 00000000853C: D3D70048 1D221160
	buffer_load_dwordx4 a[64:67], v47, s[24:27], 0 offen       // 000000008544: E05C1000 8086402F
	v_mfma_i32_16x16x32_i8 v[72:75], a[98:99], a[10:11], v[72:75]// 00000000854C: D3D70048 1D221562
	v_mfma_i32_16x16x32_i8 v[72:75], a[100:101], a[12:13], v[72:75]// 000000008554: D3D70048 1D221964
	v_mfma_i32_16x16x32_i8 v[72:75], a[102:103], a[14:15], v[72:75]// 00000000855C: D3D70048 1D221D66
	v_mfma_i32_16x16x32_i8 v[80:83], a[104:105], a[8:9], v[80:83]// 000000008564: D3D70050 1D421168
	buffer_load_dwordx4 a[68:71], v47, s[24:27], 0 offen offset:1024// 00000000856C: E05C1400 8086442F
	v_mfma_i32_16x16x32_i8 v[80:83], a[106:107], a[10:11], v[80:83]// 000000008574: D3D70050 1D42156A
	v_mfma_i32_16x16x32_i8 v[80:83], a[108:109], a[12:13], v[80:83]// 00000000857C: D3D70050 1D42196C
	v_mfma_i32_16x16x32_i8 v[80:83], a[110:111], a[14:15], v[80:83]// 000000008584: D3D70050 1D421D6E
	v_mfma_i32_16x16x32_i8 v[88:91], a[112:113], a[8:9], v[88:91]// 00000000858C: D3D70058 1D621170
	buffer_load_dwordx4 a[72:75], v48, s[24:27], 0 offen       // 000000008594: E05C1000 80864830
	v_mfma_i32_16x16x32_i8 v[88:91], a[114:115], a[10:11], v[88:91]// 00000000859C: D3D70058 1D621572
	v_mfma_i32_16x16x32_i8 v[88:91], a[116:117], a[12:13], v[88:91]// 0000000085A4: D3D70058 1D621974
	v_mfma_i32_16x16x32_i8 v[88:91], a[118:119], a[14:15], v[88:91]// 0000000085AC: D3D70058 1D621D76
	v_mfma_i32_16x16x32_i8 v[96:99], a[120:121], a[8:9], v[96:99]// 0000000085B4: D3D70060 1D821178
	buffer_load_dwordx4 a[76:79], v48, s[24:27], 0 offen offset:1024// 0000000085BC: E05C1400 80864C30
	buffer_load_dword v39, s[20:23], 0 offen lds               // 0000000085C4: E0511000 80050027
	s_add_u32 m0, 0x100, s49                                   // 0000000085CC: 807C31FF 00000100
	v_mfma_i32_16x16x32_i8 v[96:99], a[122:123], a[10:11], v[96:99]// 0000000085D4: D3D70060 1D82157A
	v_mfma_i32_16x16x32_i8 v[96:99], a[124:125], a[12:13], v[96:99]// 0000000085DC: D3D70060 1D82197C
	buffer_load_dword v40, s[20:23], 0 offen lds               // 0000000085E4: E0511000 80050028
	s_add_u32 m0, 0x200, s49                                   // 0000000085EC: 807C31FF 00000200
	v_mfma_i32_16x16x32_i8 v[96:99], a[126:127], a[14:15], v[96:99]// 0000000085F4: D3D70060 1D821D7E
	buffer_load_dword v41, s[20:23], 0 offen lds               // 0000000085FC: E0511000 80050029
	s_add_u32 m0, 0x300, s49                                   // 000000008604: 807C31FF 00000300
	buffer_load_dword v42, s[20:23], 0 offen lds               // 00000000860C: E0511000 8005002A
	s_add_u32 m0, 0, s50                                       // 000000008614: 807C3280
	s_waitcnt vmcnt(16)                                        // 000000008618: BF8C4F70
	s_barrier                                                  // 00000000861C: BF8A0000
	v_mfma_i32_16x16x32_i8 v[100:103], a[128:129], a[0:1], v[100:103]// 000000008620: D3D70064 1D920180
	buffer_load_dwordx4 a[80:83], v43, s[84:87], 0 offen       // 000000008628: E05C1000 8095502B
	v_mfma_i32_16x16x32_i8 v[100:103], a[130:131], a[2:3], v[100:103]// 000000008630: D3D70064 1D920582
	v_mfma_i32_16x16x32_i8 v[100:103], a[132:133], a[4:5], v[100:103]// 000000008638: D3D70064 1D920984
	ds_read_b128 a[16:19], v2                                  // 000000008640: DBFE0000 10000002
	ds_read_b128 a[20:23], v2 offset:64                        // 000000008648: DBFE0040 14000002
	v_mfma_i32_16x16x32_i8 v[100:103], a[134:135], a[6:7], v[100:103]// 000000008650: D3D70064 1D920D86
	v_mfma_i32_16x16x32_i8 v[108:111], a[136:137], a[0:1], v[108:111]// 000000008658: D3D7006C 1DB20188
	buffer_load_dwordx4 a[84:87], v43, s[84:87], 0 offen offset:1024// 000000008660: E05C1400 8095542B
	v_mfma_i32_16x16x32_i8 v[108:111], a[138:139], a[2:3], v[108:111]// 000000008668: D3D7006C 1DB2058A
	v_mfma_i32_16x16x32_i8 v[108:111], a[140:141], a[4:5], v[108:111]// 000000008670: D3D7006C 1DB2098C
	ds_read_b128 a[24:27], v2 offset:512                       // 000000008678: DBFE0200 18000002
	ds_read_b128 a[28:31], v2 offset:576                       // 000000008680: DBFE0240 1C000002
	v_mfma_i32_16x16x32_i8 v[108:111], a[142:143], a[6:7], v[108:111]// 000000008688: D3D7006C 1DB20D8E
	v_mfma_i32_16x16x32_i8 v[116:119], a[144:145], a[0:1], v[116:119]// 000000008690: D3D70074 1DD20190
	buffer_load_dwordx4 a[88:91], v44, s[84:87], 0 offen       // 000000008698: E05C1000 8095582C
	v_mfma_i32_16x16x32_i8 v[116:119], a[146:147], a[2:3], v[116:119]// 0000000086A0: D3D70074 1DD20592
	v_mfma_i32_16x16x32_i8 v[116:119], a[148:149], a[4:5], v[116:119]// 0000000086A8: D3D70074 1DD20994
	v_mfma_i32_16x16x32_i8 v[116:119], a[150:151], a[6:7], v[116:119]// 0000000086B0: D3D70074 1DD20D96
	v_mfma_i32_16x16x32_i8 v[124:127], a[152:153], a[0:1], v[124:127]// 0000000086B8: D3D7007C 1DF20198
	buffer_load_dwordx4 a[92:95], v44, s[84:87], 0 offen offset:1024// 0000000086C0: E05C1400 80955C2C
	v_mfma_i32_16x16x32_i8 v[124:127], a[154:155], a[2:3], v[124:127]// 0000000086C8: D3D7007C 1DF2059A
	v_mfma_i32_16x16x32_i8 v[124:127], a[156:157], a[4:5], v[124:127]// 0000000086D0: D3D7007C 1DF2099C
	v_mfma_i32_16x16x32_i8 v[124:127], a[158:159], a[6:7], v[124:127]// 0000000086D8: D3D7007C 1DF20D9E
	v_mfma_i32_16x16x32_i8 v[132:135], a[160:161], a[0:1], v[132:135]// 0000000086E0: D3D70084 1E1201A0
	buffer_load_dwordx4 a[96:99], v45, s[84:87], 0 offen       // 0000000086E8: E05C1000 8095602D
	v_mfma_i32_16x16x32_i8 v[132:135], a[162:163], a[2:3], v[132:135]// 0000000086F0: D3D70084 1E1205A2
	v_mfma_i32_16x16x32_i8 v[132:135], a[164:165], a[4:5], v[132:135]// 0000000086F8: D3D70084 1E1209A4
	v_mfma_i32_16x16x32_i8 v[132:135], a[166:167], a[6:7], v[132:135]// 000000008700: D3D70084 1E120DA6
	v_mfma_i32_16x16x32_i8 v[140:143], a[168:169], a[0:1], v[140:143]// 000000008708: D3D7008C 1E3201A8
	buffer_load_dwordx4 a[100:103], v45, s[84:87], 0 offen offset:1024// 000000008710: E05C1400 8095642D
	v_mfma_i32_16x16x32_i8 v[140:143], a[170:171], a[2:3], v[140:143]// 000000008718: D3D7008C 1E3205AA
	v_mfma_i32_16x16x32_i8 v[140:143], a[172:173], a[4:5], v[140:143]// 000000008720: D3D7008C 1E3209AC
	v_mfma_i32_16x16x32_i8 v[140:143], a[174:175], a[6:7], v[140:143]// 000000008728: D3D7008C 1E320DAE
	v_mfma_i32_16x16x32_i8 v[104:107], a[128:129], a[8:9], v[104:107]// 000000008730: D3D70068 1DA21180
	buffer_load_dwordx4 a[104:107], v46, s[84:87], 0 offen     // 000000008738: E05C1000 8095682E
	v_mfma_i32_16x16x32_i8 v[104:107], a[130:131], a[10:11], v[104:107]// 000000008740: D3D70068 1DA21582
	v_mfma_i32_16x16x32_i8 v[104:107], a[132:133], a[12:13], v[104:107]// 000000008748: D3D70068 1DA21984
	v_mfma_i32_16x16x32_i8 v[104:107], a[134:135], a[14:15], v[104:107]// 000000008750: D3D70068 1DA21D86
	v_mfma_i32_16x16x32_i8 v[112:115], a[136:137], a[8:9], v[112:115]// 000000008758: D3D70070 1DC21188
	buffer_load_dwordx4 a[108:111], v46, s[84:87], 0 offen offset:1024// 000000008760: E05C1400 80956C2E
	v_mfma_i32_16x16x32_i8 v[112:115], a[138:139], a[10:11], v[112:115]// 000000008768: D3D70070 1DC2158A
	v_mfma_i32_16x16x32_i8 v[112:115], a[140:141], a[12:13], v[112:115]// 000000008770: D3D70070 1DC2198C
	v_mfma_i32_16x16x32_i8 v[112:115], a[142:143], a[14:15], v[112:115]// 000000008778: D3D70070 1DC21D8E
	v_mfma_i32_16x16x32_i8 v[120:123], a[144:145], a[8:9], v[120:123]// 000000008780: D3D70078 1DE21190
	buffer_load_dwordx4 a[112:115], v47, s[84:87], 0 offen     // 000000008788: E05C1000 8095702F
	v_mfma_i32_16x16x32_i8 v[120:123], a[146:147], a[10:11], v[120:123]// 000000008790: D3D70078 1DE21592
	v_mfma_i32_16x16x32_i8 v[120:123], a[148:149], a[12:13], v[120:123]// 000000008798: D3D70078 1DE21994
	v_mfma_i32_16x16x32_i8 v[120:123], a[150:151], a[14:15], v[120:123]// 0000000087A0: D3D70078 1DE21D96
	v_mfma_i32_16x16x32_i8 v[128:131], a[152:153], a[8:9], v[128:131]// 0000000087A8: D3D70080 1E021198
	buffer_load_dwordx4 a[116:119], v47, s[84:87], 0 offen offset:1024// 0000000087B0: E05C1400 8095742F
	v_mfma_i32_16x16x32_i8 v[128:131], a[154:155], a[10:11], v[128:131]// 0000000087B8: D3D70080 1E02159A
	v_mfma_i32_16x16x32_i8 v[128:131], a[156:157], a[12:13], v[128:131]// 0000000087C0: D3D70080 1E02199C
	v_mfma_i32_16x16x32_i8 v[128:131], a[158:159], a[14:15], v[128:131]// 0000000087C8: D3D70080 1E021D9E
	v_mfma_i32_16x16x32_i8 v[136:139], a[160:161], a[8:9], v[136:139]// 0000000087D0: D3D70088 1E2211A0
	buffer_load_dwordx4 a[120:123], v48, s[84:87], 0 offen     // 0000000087D8: E05C1000 80957830
	s_add_u32 s60, 0x180, s80                                  // 0000000087E0: 803C50FF 00000180
	s_cmp_lt_u32 s60, s81                                      // 0000000087E8: BF0A513C
	s_cselect_b32 s57, s57, 0                                  // 0000000087EC: 85398039
	v_mfma_i32_16x16x32_i8 v[136:139], a[162:163], a[10:11], v[136:139]// 0000000087F0: D3D70088 1E2215A2
	s_add_u32 s60, 0x100, s80                                  // 0000000087F8: 803C50FF 00000100
	s_cmp_lt_u32 s60, s81                                      // 000000008800: BF0A513C
	s_cselect_b32 s58, s58, 0                                  // 000000008804: 853A803A
	v_mfma_i32_16x16x32_i8 v[136:139], a[164:165], a[12:13], v[136:139]// 000000008808: D3D70088 1E2219A4
	s_add_u32 s60, 0x100, s80                                  // 000000008810: 803C50FF 00000100
	s_cmp_lt_u32 s60, s81                                      // 000000008818: BF0A513C
	s_cselect_b32 s83, s83, 0                                  // 00000000881C: 85538053
	v_mfma_i32_16x16x32_i8 v[136:139], a[166:167], a[14:15], v[136:139]// 000000008820: D3D70088 1E221DA6
	s_add_u32 s24, s58, s24                                    // 000000008828: 8018183A
	s_addc_u32 s25, 0, s25                                     // 00000000882C: 82191980
	v_mfma_i32_16x16x32_i8 v[144:147], a[168:169], a[8:9], v[144:147]// 000000008830: D3D70090 1E4211A8
	buffer_load_dwordx4 a[124:127], v48, s[84:87], 0 offen offset:1024// 000000008838: E05C1400 80957C30
	s_add_u32 s20, s57, s20                                    // 000000008840: 80141439
	s_addc_u32 s21, 0, s21                                     // 000000008844: 82151580
	v_mfma_i32_16x16x32_i8 v[144:147], a[170:171], a[10:11], v[144:147]// 000000008848: D3D70090 1E4215AA
	s_add_u32 s84, s83, s84                                    // 000000008850: 80545453
	s_addc_u32 s85, 0, s85                                     // 000000008854: 82555580
	v_mfma_i32_16x16x32_i8 v[144:147], a[172:173], a[12:13], v[144:147]// 000000008858: D3D70090 1E4219AC
	v_mfma_i32_16x16x32_i8 v[144:147], a[174:175], a[14:15], v[144:147]// 000000008860: D3D70090 1E421DAE
	s_addk_i32 s80, 0x80                                       // 000000008868: B7500080
	s_cmp_lt_i32 s80, s81                                      // 00000000886C: BF045150
	s_cbranch_scc0 label_1A7E                                  // 000000008870: BF84035E
	s_waitcnt vmcnt(16) lgkmcnt(0)                             // 000000008874: BF8C4070
	v_mfma_i32_16x16x32_i8 v[52:55], a[32:33], a[16:17], v[52:55]// 000000008878: D3D70034 1CD22120
	buffer_load_dwordx4 a[128:131], v43, s[24:27], 0 offen     // 000000008880: E05C1000 8086802B
	v_mfma_i32_16x16x32_i8 v[52:55], a[34:35], a[18:19], v[52:55]// 000000008888: D3D70034 1CD22522
	v_mfma_i32_16x16x32_i8 v[52:55], a[36:37], a[20:21], v[52:55]// 000000008890: D3D70034 1CD22924
	v_mfma_i32_16x16x32_i8 v[52:55], a[38:39], a[22:23], v[52:55]// 000000008898: D3D70034 1CD22D26
	v_mfma_i32_16x16x32_i8 v[60:63], a[40:41], a[16:17], v[60:63]// 0000000088A0: D3D7003C 1CF22128
	buffer_load_dwordx4 a[132:135], v43, s[24:27], 0 offen offset:1024// 0000000088A8: E05C1400 8086842B
	v_mfma_i32_16x16x32_i8 v[60:63], a[42:43], a[18:19], v[60:63]// 0000000088B0: D3D7003C 1CF2252A
	v_mfma_i32_16x16x32_i8 v[60:63], a[44:45], a[20:21], v[60:63]// 0000000088B8: D3D7003C 1CF2292C
	v_mfma_i32_16x16x32_i8 v[60:63], a[46:47], a[22:23], v[60:63]// 0000000088C0: D3D7003C 1CF22D2E
	v_mfma_i32_16x16x32_i8 v[68:71], a[48:49], a[16:17], v[68:71]// 0000000088C8: D3D70044 1D122130
	buffer_load_dwordx4 a[136:139], v44, s[24:27], 0 offen     // 0000000088D0: E05C1000 8086882C
	v_mfma_i32_16x16x32_i8 v[68:71], a[50:51], a[18:19], v[68:71]// 0000000088D8: D3D70044 1D122532
	v_mfma_i32_16x16x32_i8 v[68:71], a[52:53], a[20:21], v[68:71]// 0000000088E0: D3D70044 1D122934
	v_mfma_i32_16x16x32_i8 v[68:71], a[54:55], a[22:23], v[68:71]// 0000000088E8: D3D70044 1D122D36
	v_mfma_i32_16x16x32_i8 v[76:79], a[56:57], a[16:17], v[76:79]// 0000000088F0: D3D7004C 1D322138
	buffer_load_dwordx4 a[140:143], v44, s[24:27], 0 offen offset:1024// 0000000088F8: E05C1400 80868C2C
	v_mfma_i32_16x16x32_i8 v[76:79], a[58:59], a[18:19], v[76:79]// 000000008900: D3D7004C 1D32253A
	v_mfma_i32_16x16x32_i8 v[76:79], a[60:61], a[20:21], v[76:79]// 000000008908: D3D7004C 1D32293C
	v_mfma_i32_16x16x32_i8 v[76:79], a[62:63], a[22:23], v[76:79]// 000000008910: D3D7004C 1D322D3E
	v_mfma_i32_16x16x32_i8 v[84:87], a[64:65], a[16:17], v[84:87]// 000000008918: D3D70054 1D522140
	buffer_load_dwordx4 a[144:147], v45, s[24:27], 0 offen     // 000000008920: E05C1000 8086902D
	v_mfma_i32_16x16x32_i8 v[84:87], a[66:67], a[18:19], v[84:87]// 000000008928: D3D70054 1D522542
	v_mfma_i32_16x16x32_i8 v[84:87], a[68:69], a[20:21], v[84:87]// 000000008930: D3D70054 1D522944
	v_mfma_i32_16x16x32_i8 v[84:87], a[70:71], a[22:23], v[84:87]// 000000008938: D3D70054 1D522D46
	v_mfma_i32_16x16x32_i8 v[92:95], a[72:73], a[16:17], v[92:95]// 000000008940: D3D7005C 1D722148
	buffer_load_dwordx4 a[148:151], v45, s[24:27], 0 offen offset:1024// 000000008948: E05C1400 8086942D
	v_mfma_i32_16x16x32_i8 v[92:95], a[74:75], a[18:19], v[92:95]// 000000008950: D3D7005C 1D72254A
	v_mfma_i32_16x16x32_i8 v[92:95], a[76:77], a[20:21], v[92:95]// 000000008958: D3D7005C 1D72294C
	v_mfma_i32_16x16x32_i8 v[92:95], a[78:79], a[22:23], v[92:95]// 000000008960: D3D7005C 1D722D4E
	v_mfma_i32_16x16x32_i8 v[56:59], a[32:33], a[24:25], v[56:59]// 000000008968: D3D70038 1CE23120
	buffer_load_dwordx4 a[152:155], v46, s[24:27], 0 offen     // 000000008970: E05C1000 8086982E
	v_mfma_i32_16x16x32_i8 v[56:59], a[34:35], a[26:27], v[56:59]// 000000008978: D3D70038 1CE23522
	v_mfma_i32_16x16x32_i8 v[56:59], a[36:37], a[28:29], v[56:59]// 000000008980: D3D70038 1CE23924
	v_mfma_i32_16x16x32_i8 v[56:59], a[38:39], a[30:31], v[56:59]// 000000008988: D3D70038 1CE23D26
	v_mfma_i32_16x16x32_i8 v[64:67], a[40:41], a[24:25], v[64:67]// 000000008990: D3D70040 1D023128
	buffer_load_dwordx4 a[156:159], v46, s[24:27], 0 offen offset:1024// 000000008998: E05C1400 80869C2E
	v_mfma_i32_16x16x32_i8 v[64:67], a[42:43], a[26:27], v[64:67]// 0000000089A0: D3D70040 1D02352A
	v_mfma_i32_16x16x32_i8 v[64:67], a[44:45], a[28:29], v[64:67]// 0000000089A8: D3D70040 1D02392C
	v_mfma_i32_16x16x32_i8 v[64:67], a[46:47], a[30:31], v[64:67]// 0000000089B0: D3D70040 1D023D2E
	v_mfma_i32_16x16x32_i8 v[72:75], a[48:49], a[24:25], v[72:75]// 0000000089B8: D3D70048 1D223130
	buffer_load_dwordx4 a[160:163], v47, s[24:27], 0 offen     // 0000000089C0: E05C1000 8086A02F
	v_mfma_i32_16x16x32_i8 v[72:75], a[50:51], a[26:27], v[72:75]// 0000000089C8: D3D70048 1D223532
	v_mfma_i32_16x16x32_i8 v[72:75], a[52:53], a[28:29], v[72:75]// 0000000089D0: D3D70048 1D223934
	v_mfma_i32_16x16x32_i8 v[72:75], a[54:55], a[30:31], v[72:75]// 0000000089D8: D3D70048 1D223D36
	v_mfma_i32_16x16x32_i8 v[80:83], a[56:57], a[24:25], v[80:83]// 0000000089E0: D3D70050 1D423138
	buffer_load_dwordx4 a[164:167], v47, s[24:27], 0 offen offset:1024// 0000000089E8: E05C1400 8086A42F
	v_mfma_i32_16x16x32_i8 v[80:83], a[58:59], a[26:27], v[80:83]// 0000000089F0: D3D70050 1D42353A
	v_mfma_i32_16x16x32_i8 v[80:83], a[60:61], a[28:29], v[80:83]// 0000000089F8: D3D70050 1D42393C
	v_mfma_i32_16x16x32_i8 v[80:83], a[62:63], a[30:31], v[80:83]// 000000008A00: D3D70050 1D423D3E
	v_mfma_i32_16x16x32_i8 v[88:91], a[64:65], a[24:25], v[88:91]// 000000008A08: D3D70058 1D623140
	buffer_load_dwordx4 a[168:171], v48, s[24:27], 0 offen     // 000000008A10: E05C1000 8086A830
	v_mfma_i32_16x16x32_i8 v[88:91], a[66:67], a[26:27], v[88:91]// 000000008A18: D3D70058 1D623542
	v_mfma_i32_16x16x32_i8 v[88:91], a[68:69], a[28:29], v[88:91]// 000000008A20: D3D70058 1D623944
	v_mfma_i32_16x16x32_i8 v[88:91], a[70:71], a[30:31], v[88:91]// 000000008A28: D3D70058 1D623D46
	v_mfma_i32_16x16x32_i8 v[96:99], a[72:73], a[24:25], v[96:99]// 000000008A30: D3D70060 1D823148
	buffer_load_dwordx4 a[172:175], v48, s[24:27], 0 offen offset:1024// 000000008A38: E05C1400 8086AC30
	buffer_load_dword v39, s[20:23], 0 offen lds               // 000000008A40: E0511000 80050027
	s_add_u32 m0, 0x100, s50                                   // 000000008A48: 807C32FF 00000100
	v_mfma_i32_16x16x32_i8 v[96:99], a[74:75], a[26:27], v[96:99]// 000000008A50: D3D70060 1D82354A
	v_mfma_i32_16x16x32_i8 v[96:99], a[76:77], a[28:29], v[96:99]// 000000008A58: D3D70060 1D82394C
	buffer_load_dword v40, s[20:23], 0 offen lds               // 000000008A60: E0511000 80050028
	s_add_u32 m0, 0x200, s50                                   // 000000008A68: 807C32FF 00000200
	v_mfma_i32_16x16x32_i8 v[96:99], a[78:79], a[30:31], v[96:99]// 000000008A70: D3D70060 1D823D4E
	buffer_load_dword v41, s[20:23], 0 offen lds               // 000000008A78: E0511000 80050029
	s_add_u32 m0, 0x300, s50                                   // 000000008A80: 807C32FF 00000300
	buffer_load_dword v42, s[20:23], 0 offen lds               // 000000008A88: E0511000 8005002A
	s_add_u32 m0, 0, s48                                       // 000000008A90: 807C3080
	s_waitcnt vmcnt(16)                                        // 000000008A94: BF8C4F70
	s_barrier                                                  // 000000008A98: BF8A0000
	v_mfma_i32_16x16x32_i8 v[100:103], a[80:81], a[16:17], v[100:103]// 000000008A9C: D3D70064 1D922150
	buffer_load_dwordx4 a[32:35], v43, s[84:87], 0 offen       // 000000008AA4: E05C1000 8095202B
	v_mfma_i32_16x16x32_i8 v[100:103], a[82:83], a[18:19], v[100:103]// 000000008AAC: D3D70064 1D922552
	v_mfma_i32_16x16x32_i8 v[100:103], a[84:85], a[20:21], v[100:103]// 000000008AB4: D3D70064 1D922954
	ds_read_b128 a[0:3], v2 offset:4224                        // 000000008ABC: DBFE1080 00000002
	ds_read_b128 a[4:7], v2 offset:4288                        // 000000008AC4: DBFE10C0 04000002
	v_mfma_i32_16x16x32_i8 v[100:103], a[86:87], a[22:23], v[100:103]// 000000008ACC: D3D70064 1D922D56
	v_mfma_i32_16x16x32_i8 v[108:111], a[88:89], a[16:17], v[108:111]// 000000008AD4: D3D7006C 1DB22158
	buffer_load_dwordx4 a[36:39], v43, s[84:87], 0 offen offset:1024// 000000008ADC: E05C1400 8095242B
	v_mfma_i32_16x16x32_i8 v[108:111], a[90:91], a[18:19], v[108:111]// 000000008AE4: D3D7006C 1DB2255A
	v_mfma_i32_16x16x32_i8 v[108:111], a[92:93], a[20:21], v[108:111]// 000000008AEC: D3D7006C 1DB2295C
	ds_read_b128 a[8:11], v2 offset:4736                       // 000000008AF4: DBFE1280 08000002
	ds_read_b128 a[12:15], v2 offset:4800                      // 000000008AFC: DBFE12C0 0C000002
	v_mfma_i32_16x16x32_i8 v[108:111], a[94:95], a[22:23], v[108:111]// 000000008B04: D3D7006C 1DB22D5E
	v_mfma_i32_16x16x32_i8 v[116:119], a[96:97], a[16:17], v[116:119]// 000000008B0C: D3D70074 1DD22160
	buffer_load_dwordx4 a[40:43], v44, s[84:87], 0 offen       // 000000008B14: E05C1000 8095282C
	v_mfma_i32_16x16x32_i8 v[116:119], a[98:99], a[18:19], v[116:119]// 000000008B1C: D3D70074 1DD22562
	v_mfma_i32_16x16x32_i8 v[116:119], a[100:101], a[20:21], v[116:119]// 000000008B24: D3D70074 1DD22964
	v_mfma_i32_16x16x32_i8 v[116:119], a[102:103], a[22:23], v[116:119]// 000000008B2C: D3D70074 1DD22D66
	v_mfma_i32_16x16x32_i8 v[124:127], a[104:105], a[16:17], v[124:127]// 000000008B34: D3D7007C 1DF22168
	buffer_load_dwordx4 a[44:47], v44, s[84:87], 0 offen offset:1024// 000000008B3C: E05C1400 80952C2C
	v_mfma_i32_16x16x32_i8 v[124:127], a[106:107], a[18:19], v[124:127]// 000000008B44: D3D7007C 1DF2256A
	v_mfma_i32_16x16x32_i8 v[124:127], a[108:109], a[20:21], v[124:127]// 000000008B4C: D3D7007C 1DF2296C
	v_mfma_i32_16x16x32_i8 v[124:127], a[110:111], a[22:23], v[124:127]// 000000008B54: D3D7007C 1DF22D6E
	v_mfma_i32_16x16x32_i8 v[132:135], a[112:113], a[16:17], v[132:135]// 000000008B5C: D3D70084 1E122170
	buffer_load_dwordx4 a[48:51], v45, s[84:87], 0 offen       // 000000008B64: E05C1000 8095302D
	v_mfma_i32_16x16x32_i8 v[132:135], a[114:115], a[18:19], v[132:135]// 000000008B6C: D3D70084 1E122572
	v_mfma_i32_16x16x32_i8 v[132:135], a[116:117], a[20:21], v[132:135]// 000000008B74: D3D70084 1E122974
	v_mfma_i32_16x16x32_i8 v[132:135], a[118:119], a[22:23], v[132:135]// 000000008B7C: D3D70084 1E122D76
	v_mfma_i32_16x16x32_i8 v[140:143], a[120:121], a[16:17], v[140:143]// 000000008B84: D3D7008C 1E322178
	buffer_load_dwordx4 a[52:55], v45, s[84:87], 0 offen offset:1024// 000000008B8C: E05C1400 8095342D
	v_mfma_i32_16x16x32_i8 v[140:143], a[122:123], a[18:19], v[140:143]// 000000008B94: D3D7008C 1E32257A
	v_mfma_i32_16x16x32_i8 v[140:143], a[124:125], a[20:21], v[140:143]// 000000008B9C: D3D7008C 1E32297C
	v_mfma_i32_16x16x32_i8 v[140:143], a[126:127], a[22:23], v[140:143]// 000000008BA4: D3D7008C 1E322D7E
	v_mfma_i32_16x16x32_i8 v[104:107], a[80:81], a[24:25], v[104:107]// 000000008BAC: D3D70068 1DA23150
	buffer_load_dwordx4 a[56:59], v46, s[84:87], 0 offen       // 000000008BB4: E05C1000 8095382E
	v_mfma_i32_16x16x32_i8 v[104:107], a[82:83], a[26:27], v[104:107]// 000000008BBC: D3D70068 1DA23552
	v_mfma_i32_16x16x32_i8 v[104:107], a[84:85], a[28:29], v[104:107]// 000000008BC4: D3D70068 1DA23954
	v_mfma_i32_16x16x32_i8 v[104:107], a[86:87], a[30:31], v[104:107]// 000000008BCC: D3D70068 1DA23D56
	v_mfma_i32_16x16x32_i8 v[112:115], a[88:89], a[24:25], v[112:115]// 000000008BD4: D3D70070 1DC23158
	buffer_load_dwordx4 a[60:63], v46, s[84:87], 0 offen offset:1024// 000000008BDC: E05C1400 80953C2E
	v_mfma_i32_16x16x32_i8 v[112:115], a[90:91], a[26:27], v[112:115]// 000000008BE4: D3D70070 1DC2355A
	v_mfma_i32_16x16x32_i8 v[112:115], a[92:93], a[28:29], v[112:115]// 000000008BEC: D3D70070 1DC2395C
	v_mfma_i32_16x16x32_i8 v[112:115], a[94:95], a[30:31], v[112:115]// 000000008BF4: D3D70070 1DC23D5E
	v_mfma_i32_16x16x32_i8 v[120:123], a[96:97], a[24:25], v[120:123]// 000000008BFC: D3D70078 1DE23160
	buffer_load_dwordx4 a[64:67], v47, s[84:87], 0 offen       // 000000008C04: E05C1000 8095402F
	v_mfma_i32_16x16x32_i8 v[120:123], a[98:99], a[26:27], v[120:123]// 000000008C0C: D3D70078 1DE23562
	v_mfma_i32_16x16x32_i8 v[120:123], a[100:101], a[28:29], v[120:123]// 000000008C14: D3D70078 1DE23964
	v_mfma_i32_16x16x32_i8 v[120:123], a[102:103], a[30:31], v[120:123]// 000000008C1C: D3D70078 1DE23D66
	v_mfma_i32_16x16x32_i8 v[128:131], a[104:105], a[24:25], v[128:131]// 000000008C24: D3D70080 1E023168
	buffer_load_dwordx4 a[68:71], v47, s[84:87], 0 offen offset:1024// 000000008C2C: E05C1400 8095442F
	v_mfma_i32_16x16x32_i8 v[128:131], a[106:107], a[26:27], v[128:131]// 000000008C34: D3D70080 1E02356A
	v_mfma_i32_16x16x32_i8 v[128:131], a[108:109], a[28:29], v[128:131]// 000000008C3C: D3D70080 1E02396C
	v_mfma_i32_16x16x32_i8 v[128:131], a[110:111], a[30:31], v[128:131]// 000000008C44: D3D70080 1E023D6E
	v_mfma_i32_16x16x32_i8 v[136:139], a[112:113], a[24:25], v[136:139]// 000000008C4C: D3D70088 1E223170
	buffer_load_dwordx4 a[72:75], v48, s[84:87], 0 offen       // 000000008C54: E05C1000 80954830
	s_add_u32 s60, 0x180, s80                                  // 000000008C5C: 803C50FF 00000180
	s_cmp_lt_u32 s60, s81                                      // 000000008C64: BF0A513C
	s_cselect_b32 s57, s57, 0                                  // 000000008C68: 85398039
	v_mfma_i32_16x16x32_i8 v[136:139], a[114:115], a[26:27], v[136:139]// 000000008C6C: D3D70088 1E223572
	s_add_u32 s60, 0x100, s80                                  // 000000008C74: 803C50FF 00000100
	s_cmp_lt_u32 s60, s81                                      // 000000008C7C: BF0A513C
	s_cselect_b32 s58, s58, 0                                  // 000000008C80: 853A803A
	v_mfma_i32_16x16x32_i8 v[136:139], a[116:117], a[28:29], v[136:139]// 000000008C84: D3D70088 1E223974
	s_add_u32 s60, 0x100, s80                                  // 000000008C8C: 803C50FF 00000100
	s_cmp_lt_u32 s60, s81                                      // 000000008C94: BF0A513C
	s_cselect_b32 s83, s83, 0                                  // 000000008C98: 85538053
	v_mfma_i32_16x16x32_i8 v[136:139], a[118:119], a[30:31], v[136:139]// 000000008C9C: D3D70088 1E223D76
	s_add_u32 s24, s58, s24                                    // 000000008CA4: 8018183A
	s_addc_u32 s25, 0, s25                                     // 000000008CA8: 82191980
	v_mfma_i32_16x16x32_i8 v[144:147], a[120:121], a[24:25], v[144:147]// 000000008CAC: D3D70090 1E423178
	buffer_load_dwordx4 a[76:79], v48, s[84:87], 0 offen offset:1024// 000000008CB4: E05C1400 80954C30
	s_add_u32 s20, s57, s20                                    // 000000008CBC: 80141439
	s_addc_u32 s21, 0, s21                                     // 000000008CC0: 82151580
	v_mfma_i32_16x16x32_i8 v[144:147], a[122:123], a[26:27], v[144:147]// 000000008CC4: D3D70090 1E42357A
	s_add_u32 s84, s83, s84                                    // 000000008CCC: 80545453
	s_addc_u32 s85, 0, s85                                     // 000000008CD0: 82555580
	v_mfma_i32_16x16x32_i8 v[144:147], a[124:125], a[28:29], v[144:147]// 000000008CD4: D3D70090 1E42397C
	v_mfma_i32_16x16x32_i8 v[144:147], a[126:127], a[30:31], v[144:147]// 000000008CDC: D3D70090 1E423D7E
	s_addk_i32 s80, 0x80                                       // 000000008CE4: B7500080
	s_cmp_lt_i32 s80, s81                                      // 000000008CE8: BF045150
	s_cbranch_scc0 label_1A7E                                  // 000000008CEC: BF84023F
	s_waitcnt vmcnt(16) lgkmcnt(0)                             // 000000008CF0: BF8C4070
	v_mfma_i32_16x16x32_i8 v[52:55], a[128:129], a[0:1], v[52:55]// 000000008CF4: D3D70034 1CD20180
	buffer_load_dwordx4 a[80:83], v43, s[24:27], 0 offen       // 000000008CFC: E05C1000 8086502B
	v_mfma_i32_16x16x32_i8 v[52:55], a[130:131], a[2:3], v[52:55]// 000000008D04: D3D70034 1CD20582
	v_mfma_i32_16x16x32_i8 v[52:55], a[132:133], a[4:5], v[52:55]// 000000008D0C: D3D70034 1CD20984
	v_mfma_i32_16x16x32_i8 v[52:55], a[134:135], a[6:7], v[52:55]// 000000008D14: D3D70034 1CD20D86
	v_mfma_i32_16x16x32_i8 v[60:63], a[136:137], a[0:1], v[60:63]// 000000008D1C: D3D7003C 1CF20188
	buffer_load_dwordx4 a[84:87], v43, s[24:27], 0 offen offset:1024// 000000008D24: E05C1400 8086542B
	v_mfma_i32_16x16x32_i8 v[60:63], a[138:139], a[2:3], v[60:63]// 000000008D2C: D3D7003C 1CF2058A
	v_mfma_i32_16x16x32_i8 v[60:63], a[140:141], a[4:5], v[60:63]// 000000008D34: D3D7003C 1CF2098C
	v_mfma_i32_16x16x32_i8 v[60:63], a[142:143], a[6:7], v[60:63]// 000000008D3C: D3D7003C 1CF20D8E
	v_mfma_i32_16x16x32_i8 v[68:71], a[144:145], a[0:1], v[68:71]// 000000008D44: D3D70044 1D120190
	buffer_load_dwordx4 a[88:91], v44, s[24:27], 0 offen       // 000000008D4C: E05C1000 8086582C
	v_mfma_i32_16x16x32_i8 v[68:71], a[146:147], a[2:3], v[68:71]// 000000008D54: D3D70044 1D120592
	v_mfma_i32_16x16x32_i8 v[68:71], a[148:149], a[4:5], v[68:71]// 000000008D5C: D3D70044 1D120994
	v_mfma_i32_16x16x32_i8 v[68:71], a[150:151], a[6:7], v[68:71]// 000000008D64: D3D70044 1D120D96
	v_mfma_i32_16x16x32_i8 v[76:79], a[152:153], a[0:1], v[76:79]// 000000008D6C: D3D7004C 1D320198
	buffer_load_dwordx4 a[92:95], v44, s[24:27], 0 offen offset:1024// 000000008D74: E05C1400 80865C2C
	v_mfma_i32_16x16x32_i8 v[76:79], a[154:155], a[2:3], v[76:79]// 000000008D7C: D3D7004C 1D32059A
	v_mfma_i32_16x16x32_i8 v[76:79], a[156:157], a[4:5], v[76:79]// 000000008D84: D3D7004C 1D32099C
	v_mfma_i32_16x16x32_i8 v[76:79], a[158:159], a[6:7], v[76:79]// 000000008D8C: D3D7004C 1D320D9E
	v_mfma_i32_16x16x32_i8 v[84:87], a[160:161], a[0:1], v[84:87]// 000000008D94: D3D70054 1D5201A0
	buffer_load_dwordx4 a[96:99], v45, s[24:27], 0 offen       // 000000008D9C: E05C1000 8086602D
	v_mfma_i32_16x16x32_i8 v[84:87], a[162:163], a[2:3], v[84:87]// 000000008DA4: D3D70054 1D5205A2
	v_mfma_i32_16x16x32_i8 v[84:87], a[164:165], a[4:5], v[84:87]// 000000008DAC: D3D70054 1D5209A4
	v_mfma_i32_16x16x32_i8 v[84:87], a[166:167], a[6:7], v[84:87]// 000000008DB4: D3D70054 1D520DA6
	v_mfma_i32_16x16x32_i8 v[92:95], a[168:169], a[0:1], v[92:95]// 000000008DBC: D3D7005C 1D7201A8
	buffer_load_dwordx4 a[100:103], v45, s[24:27], 0 offen offset:1024// 000000008DC4: E05C1400 8086642D
	v_mfma_i32_16x16x32_i8 v[92:95], a[170:171], a[2:3], v[92:95]// 000000008DCC: D3D7005C 1D7205AA
	v_mfma_i32_16x16x32_i8 v[92:95], a[172:173], a[4:5], v[92:95]// 000000008DD4: D3D7005C 1D7209AC
	v_mfma_i32_16x16x32_i8 v[92:95], a[174:175], a[6:7], v[92:95]// 000000008DDC: D3D7005C 1D720DAE
	v_mfma_i32_16x16x32_i8 v[56:59], a[128:129], a[8:9], v[56:59]// 000000008DE4: D3D70038 1CE21180
	buffer_load_dwordx4 a[104:107], v46, s[24:27], 0 offen     // 000000008DEC: E05C1000 8086682E
	v_mfma_i32_16x16x32_i8 v[56:59], a[130:131], a[10:11], v[56:59]// 000000008DF4: D3D70038 1CE21582
	v_mfma_i32_16x16x32_i8 v[56:59], a[132:133], a[12:13], v[56:59]// 000000008DFC: D3D70038 1CE21984
	v_mfma_i32_16x16x32_i8 v[56:59], a[134:135], a[14:15], v[56:59]// 000000008E04: D3D70038 1CE21D86
	v_mfma_i32_16x16x32_i8 v[64:67], a[136:137], a[8:9], v[64:67]// 000000008E0C: D3D70040 1D021188
	buffer_load_dwordx4 a[108:111], v46, s[24:27], 0 offen offset:1024// 000000008E14: E05C1400 80866C2E
	v_mfma_i32_16x16x32_i8 v[64:67], a[138:139], a[10:11], v[64:67]// 000000008E1C: D3D70040 1D02158A
	v_mfma_i32_16x16x32_i8 v[64:67], a[140:141], a[12:13], v[64:67]// 000000008E24: D3D70040 1D02198C
	v_mfma_i32_16x16x32_i8 v[64:67], a[142:143], a[14:15], v[64:67]// 000000008E2C: D3D70040 1D021D8E
	v_mfma_i32_16x16x32_i8 v[72:75], a[144:145], a[8:9], v[72:75]// 000000008E34: D3D70048 1D221190
	buffer_load_dwordx4 a[112:115], v47, s[24:27], 0 offen     // 000000008E3C: E05C1000 8086702F
	v_mfma_i32_16x16x32_i8 v[72:75], a[146:147], a[10:11], v[72:75]// 000000008E44: D3D70048 1D221592
	v_mfma_i32_16x16x32_i8 v[72:75], a[148:149], a[12:13], v[72:75]// 000000008E4C: D3D70048 1D221994
	v_mfma_i32_16x16x32_i8 v[72:75], a[150:151], a[14:15], v[72:75]// 000000008E54: D3D70048 1D221D96
	v_mfma_i32_16x16x32_i8 v[80:83], a[152:153], a[8:9], v[80:83]// 000000008E5C: D3D70050 1D421198
	buffer_load_dwordx4 a[116:119], v47, s[24:27], 0 offen offset:1024// 000000008E64: E05C1400 8086742F
	v_mfma_i32_16x16x32_i8 v[80:83], a[154:155], a[10:11], v[80:83]// 000000008E6C: D3D70050 1D42159A
	v_mfma_i32_16x16x32_i8 v[80:83], a[156:157], a[12:13], v[80:83]// 000000008E74: D3D70050 1D42199C
	v_mfma_i32_16x16x32_i8 v[80:83], a[158:159], a[14:15], v[80:83]// 000000008E7C: D3D70050 1D421D9E
	v_mfma_i32_16x16x32_i8 v[88:91], a[160:161], a[8:9], v[88:91]// 000000008E84: D3D70058 1D6211A0
	buffer_load_dwordx4 a[120:123], v48, s[24:27], 0 offen     // 000000008E8C: E05C1000 80867830
	v_mfma_i32_16x16x32_i8 v[88:91], a[162:163], a[10:11], v[88:91]// 000000008E94: D3D70058 1D6215A2
	v_mfma_i32_16x16x32_i8 v[88:91], a[164:165], a[12:13], v[88:91]// 000000008E9C: D3D70058 1D6219A4
	v_mfma_i32_16x16x32_i8 v[88:91], a[166:167], a[14:15], v[88:91]// 000000008EA4: D3D70058 1D621DA6
	v_mfma_i32_16x16x32_i8 v[96:99], a[168:169], a[8:9], v[96:99]// 000000008EAC: D3D70060 1D8211A8
	buffer_load_dwordx4 a[124:127], v48, s[24:27], 0 offen offset:1024// 000000008EB4: E05C1400 80867C30
	buffer_load_dword v39, s[20:23], 0 offen lds               // 000000008EBC: E0511000 80050027
	s_add_u32 m0, 0x100, s48                                   // 000000008EC4: 807C30FF 00000100
	v_mfma_i32_16x16x32_i8 v[96:99], a[170:171], a[10:11], v[96:99]// 000000008ECC: D3D70060 1D8215AA
	v_mfma_i32_16x16x32_i8 v[96:99], a[172:173], a[12:13], v[96:99]// 000000008ED4: D3D70060 1D8219AC
	buffer_load_dword v40, s[20:23], 0 offen lds               // 000000008EDC: E0511000 80050028
	s_add_u32 m0, 0x200, s48                                   // 000000008EE4: 807C30FF 00000200
	v_mfma_i32_16x16x32_i8 v[96:99], a[174:175], a[14:15], v[96:99]// 000000008EEC: D3D70060 1D821DAE
	buffer_load_dword v41, s[20:23], 0 offen lds               // 000000008EF4: E0511000 80050029
	s_add_u32 m0, 0x300, s48                                   // 000000008EFC: 807C30FF 00000300
	buffer_load_dword v42, s[20:23], 0 offen lds               // 000000008F04: E0511000 8005002A
	s_add_u32 m0, 0, s49                                       // 000000008F0C: 807C3180
	s_waitcnt vmcnt(16)                                        // 000000008F10: BF8C4F70
	s_barrier                                                  // 000000008F14: BF8A0000
	v_mfma_i32_16x16x32_i8 v[100:103], a[32:33], a[0:1], v[100:103]// 000000008F18: D3D70064 1D920120
	buffer_load_dwordx4 a[128:131], v43, s[84:87], 0 offen     // 000000008F20: E05C1000 8095802B
	v_mfma_i32_16x16x32_i8 v[100:103], a[34:35], a[2:3], v[100:103]// 000000008F28: D3D70064 1D920522
	v_mfma_i32_16x16x32_i8 v[100:103], a[36:37], a[4:5], v[100:103]// 000000008F30: D3D70064 1D920924
	ds_read_b128 a[16:19], v2 offset:8448                      // 000000008F38: DBFE2100 10000002
	ds_read_b128 a[20:23], v2 offset:8512                      // 000000008F40: DBFE2140 14000002
	v_mfma_i32_16x16x32_i8 v[100:103], a[38:39], a[6:7], v[100:103]// 000000008F48: D3D70064 1D920D26
	v_mfma_i32_16x16x32_i8 v[108:111], a[40:41], a[0:1], v[108:111]// 000000008F50: D3D7006C 1DB20128
	buffer_load_dwordx4 a[132:135], v43, s[84:87], 0 offen offset:1024// 000000008F58: E05C1400 8095842B
	v_mfma_i32_16x16x32_i8 v[108:111], a[42:43], a[2:3], v[108:111]// 000000008F60: D3D7006C 1DB2052A
	v_mfma_i32_16x16x32_i8 v[108:111], a[44:45], a[4:5], v[108:111]// 000000008F68: D3D7006C 1DB2092C
	ds_read_b128 a[24:27], v2 offset:8960                      // 000000008F70: DBFE2300 18000002
	ds_read_b128 a[28:31], v2 offset:9024                      // 000000008F78: DBFE2340 1C000002
	v_mfma_i32_16x16x32_i8 v[108:111], a[46:47], a[6:7], v[108:111]// 000000008F80: D3D7006C 1DB20D2E
	v_mfma_i32_16x16x32_i8 v[116:119], a[48:49], a[0:1], v[116:119]// 000000008F88: D3D70074 1DD20130
	buffer_load_dwordx4 a[136:139], v44, s[84:87], 0 offen     // 000000008F90: E05C1000 8095882C
	v_mfma_i32_16x16x32_i8 v[116:119], a[50:51], a[2:3], v[116:119]// 000000008F98: D3D70074 1DD20532
	v_mfma_i32_16x16x32_i8 v[116:119], a[52:53], a[4:5], v[116:119]// 000000008FA0: D3D70074 1DD20934
	v_mfma_i32_16x16x32_i8 v[116:119], a[54:55], a[6:7], v[116:119]// 000000008FA8: D3D70074 1DD20D36
	v_mfma_i32_16x16x32_i8 v[124:127], a[56:57], a[0:1], v[124:127]// 000000008FB0: D3D7007C 1DF20138
	buffer_load_dwordx4 a[140:143], v44, s[84:87], 0 offen offset:1024// 000000008FB8: E05C1400 80958C2C
	v_mfma_i32_16x16x32_i8 v[124:127], a[58:59], a[2:3], v[124:127]// 000000008FC0: D3D7007C 1DF2053A
	v_mfma_i32_16x16x32_i8 v[124:127], a[60:61], a[4:5], v[124:127]// 000000008FC8: D3D7007C 1DF2093C
	v_mfma_i32_16x16x32_i8 v[124:127], a[62:63], a[6:7], v[124:127]// 000000008FD0: D3D7007C 1DF20D3E
	v_mfma_i32_16x16x32_i8 v[132:135], a[64:65], a[0:1], v[132:135]// 000000008FD8: D3D70084 1E120140
	buffer_load_dwordx4 a[144:147], v45, s[84:87], 0 offen     // 000000008FE0: E05C1000 8095902D
	v_mfma_i32_16x16x32_i8 v[132:135], a[66:67], a[2:3], v[132:135]// 000000008FE8: D3D70084 1E120542
	v_mfma_i32_16x16x32_i8 v[132:135], a[68:69], a[4:5], v[132:135]// 000000008FF0: D3D70084 1E120944
	v_mfma_i32_16x16x32_i8 v[132:135], a[70:71], a[6:7], v[132:135]// 000000008FF8: D3D70084 1E120D46
	v_mfma_i32_16x16x32_i8 v[140:143], a[72:73], a[0:1], v[140:143]// 000000009000: D3D7008C 1E320148
	buffer_load_dwordx4 a[148:151], v45, s[84:87], 0 offen offset:1024// 000000009008: E05C1400 8095942D
	v_mfma_i32_16x16x32_i8 v[140:143], a[74:75], a[2:3], v[140:143]// 000000009010: D3D7008C 1E32054A
	v_mfma_i32_16x16x32_i8 v[140:143], a[76:77], a[4:5], v[140:143]// 000000009018: D3D7008C 1E32094C
	v_mfma_i32_16x16x32_i8 v[140:143], a[78:79], a[6:7], v[140:143]// 000000009020: D3D7008C 1E320D4E
	v_mfma_i32_16x16x32_i8 v[104:107], a[32:33], a[8:9], v[104:107]// 000000009028: D3D70068 1DA21120
	buffer_load_dwordx4 a[152:155], v46, s[84:87], 0 offen     // 000000009030: E05C1000 8095982E
	v_mfma_i32_16x16x32_i8 v[104:107], a[34:35], a[10:11], v[104:107]// 000000009038: D3D70068 1DA21522
	v_mfma_i32_16x16x32_i8 v[104:107], a[36:37], a[12:13], v[104:107]// 000000009040: D3D70068 1DA21924
	v_mfma_i32_16x16x32_i8 v[104:107], a[38:39], a[14:15], v[104:107]// 000000009048: D3D70068 1DA21D26
	v_mfma_i32_16x16x32_i8 v[112:115], a[40:41], a[8:9], v[112:115]// 000000009050: D3D70070 1DC21128
	buffer_load_dwordx4 a[156:159], v46, s[84:87], 0 offen offset:1024// 000000009058: E05C1400 80959C2E
	v_mfma_i32_16x16x32_i8 v[112:115], a[42:43], a[10:11], v[112:115]// 000000009060: D3D70070 1DC2152A
	v_mfma_i32_16x16x32_i8 v[112:115], a[44:45], a[12:13], v[112:115]// 000000009068: D3D70070 1DC2192C
	v_mfma_i32_16x16x32_i8 v[112:115], a[46:47], a[14:15], v[112:115]// 000000009070: D3D70070 1DC21D2E
	v_mfma_i32_16x16x32_i8 v[120:123], a[48:49], a[8:9], v[120:123]// 000000009078: D3D70078 1DE21130
	buffer_load_dwordx4 a[160:163], v47, s[84:87], 0 offen     // 000000009080: E05C1000 8095A02F
	v_mfma_i32_16x16x32_i8 v[120:123], a[50:51], a[10:11], v[120:123]// 000000009088: D3D70078 1DE21532
	v_mfma_i32_16x16x32_i8 v[120:123], a[52:53], a[12:13], v[120:123]// 000000009090: D3D70078 1DE21934
	v_mfma_i32_16x16x32_i8 v[120:123], a[54:55], a[14:15], v[120:123]// 000000009098: D3D70078 1DE21D36
	v_mfma_i32_16x16x32_i8 v[128:131], a[56:57], a[8:9], v[128:131]// 0000000090A0: D3D70080 1E021138
	buffer_load_dwordx4 a[164:167], v47, s[84:87], 0 offen offset:1024// 0000000090A8: E05C1400 8095A42F
	v_mfma_i32_16x16x32_i8 v[128:131], a[58:59], a[10:11], v[128:131]// 0000000090B0: D3D70080 1E02153A
	v_mfma_i32_16x16x32_i8 v[128:131], a[60:61], a[12:13], v[128:131]// 0000000090B8: D3D70080 1E02193C
	v_mfma_i32_16x16x32_i8 v[128:131], a[62:63], a[14:15], v[128:131]// 0000000090C0: D3D70080 1E021D3E
	v_mfma_i32_16x16x32_i8 v[136:139], a[64:65], a[8:9], v[136:139]// 0000000090C8: D3D70088 1E221140
	buffer_load_dwordx4 a[168:171], v48, s[84:87], 0 offen     // 0000000090D0: E05C1000 8095A830
	s_add_u32 s60, 0x180, s80                                  // 0000000090D8: 803C50FF 00000180
	s_cmp_lt_u32 s60, s81                                      // 0000000090E0: BF0A513C
	s_cselect_b32 s57, s57, 0                                  // 0000000090E4: 85398039
	v_mfma_i32_16x16x32_i8 v[136:139], a[66:67], a[10:11], v[136:139]// 0000000090E8: D3D70088 1E221542
	s_add_u32 s60, 0x100, s80                                  // 0000000090F0: 803C50FF 00000100
	s_cmp_lt_u32 s60, s81                                      // 0000000090F8: BF0A513C
	s_cselect_b32 s58, s58, 0                                  // 0000000090FC: 853A803A
	v_mfma_i32_16x16x32_i8 v[136:139], a[68:69], a[12:13], v[136:139]// 000000009100: D3D70088 1E221944
	s_add_u32 s60, 0x100, s80                                  // 000000009108: 803C50FF 00000100
	s_cmp_lt_u32 s60, s81                                      // 000000009110: BF0A513C
	s_cselect_b32 s83, s83, 0                                  // 000000009114: 85538053
	v_mfma_i32_16x16x32_i8 v[136:139], a[70:71], a[14:15], v[136:139]// 000000009118: D3D70088 1E221D46
	s_add_u32 s24, s58, s24                                    // 000000009120: 8018183A
	s_addc_u32 s25, 0, s25                                     // 000000009124: 82191980
	v_mfma_i32_16x16x32_i8 v[144:147], a[72:73], a[8:9], v[144:147]// 000000009128: D3D70090 1E421148
	buffer_load_dwordx4 a[172:175], v48, s[84:87], 0 offen offset:1024// 000000009130: E05C1400 8095AC30
	s_add_u32 s20, s57, s20                                    // 000000009138: 80141439
	s_addc_u32 s21, 0, s21                                     // 00000000913C: 82151580
	v_mfma_i32_16x16x32_i8 v[144:147], a[74:75], a[10:11], v[144:147]// 000000009140: D3D70090 1E42154A
	s_add_u32 s84, s83, s84                                    // 000000009148: 80545453
	s_addc_u32 s85, 0, s85                                     // 00000000914C: 82555580
	v_mfma_i32_16x16x32_i8 v[144:147], a[76:77], a[12:13], v[144:147]// 000000009150: D3D70090 1E42194C
	v_mfma_i32_16x16x32_i8 v[144:147], a[78:79], a[14:15], v[144:147]// 000000009158: D3D70090 1E421D4E
	s_addk_i32 s80, 0x80                                       // 000000009160: B7500080
	s_cmp_lt_i32 s80, s81                                      // 000000009164: BF045150
	s_cbranch_scc0 label_1A7E                                  // 000000009168: BF840120
	s_waitcnt vmcnt(16) lgkmcnt(0)                             // 00000000916C: BF8C4070
	v_mfma_i32_16x16x32_i8 v[52:55], a[80:81], a[16:17], v[52:55]// 000000009170: D3D70034 1CD22150
	buffer_load_dwordx4 a[32:35], v43, s[24:27], 0 offen       // 000000009178: E05C1000 8086202B
	v_mfma_i32_16x16x32_i8 v[52:55], a[82:83], a[18:19], v[52:55]// 000000009180: D3D70034 1CD22552
	v_mfma_i32_16x16x32_i8 v[52:55], a[84:85], a[20:21], v[52:55]// 000000009188: D3D70034 1CD22954
	v_mfma_i32_16x16x32_i8 v[52:55], a[86:87], a[22:23], v[52:55]// 000000009190: D3D70034 1CD22D56
	v_mfma_i32_16x16x32_i8 v[60:63], a[88:89], a[16:17], v[60:63]// 000000009198: D3D7003C 1CF22158
	buffer_load_dwordx4 a[36:39], v43, s[24:27], 0 offen offset:1024// 0000000091A0: E05C1400 8086242B
	v_mfma_i32_16x16x32_i8 v[60:63], a[90:91], a[18:19], v[60:63]// 0000000091A8: D3D7003C 1CF2255A
	v_mfma_i32_16x16x32_i8 v[60:63], a[92:93], a[20:21], v[60:63]// 0000000091B0: D3D7003C 1CF2295C
	v_mfma_i32_16x16x32_i8 v[60:63], a[94:95], a[22:23], v[60:63]// 0000000091B8: D3D7003C 1CF22D5E
	v_mfma_i32_16x16x32_i8 v[68:71], a[96:97], a[16:17], v[68:71]// 0000000091C0: D3D70044 1D122160
	buffer_load_dwordx4 a[40:43], v44, s[24:27], 0 offen       // 0000000091C8: E05C1000 8086282C
	v_mfma_i32_16x16x32_i8 v[68:71], a[98:99], a[18:19], v[68:71]// 0000000091D0: D3D70044 1D122562
	v_mfma_i32_16x16x32_i8 v[68:71], a[100:101], a[20:21], v[68:71]// 0000000091D8: D3D70044 1D122964
	v_mfma_i32_16x16x32_i8 v[68:71], a[102:103], a[22:23], v[68:71]// 0000000091E0: D3D70044 1D122D66
	v_mfma_i32_16x16x32_i8 v[76:79], a[104:105], a[16:17], v[76:79]// 0000000091E8: D3D7004C 1D322168
	buffer_load_dwordx4 a[44:47], v44, s[24:27], 0 offen offset:1024// 0000000091F0: E05C1400 80862C2C
	v_mfma_i32_16x16x32_i8 v[76:79], a[106:107], a[18:19], v[76:79]// 0000000091F8: D3D7004C 1D32256A
	v_mfma_i32_16x16x32_i8 v[76:79], a[108:109], a[20:21], v[76:79]// 000000009200: D3D7004C 1D32296C
	v_mfma_i32_16x16x32_i8 v[76:79], a[110:111], a[22:23], v[76:79]// 000000009208: D3D7004C 1D322D6E
	v_mfma_i32_16x16x32_i8 v[84:87], a[112:113], a[16:17], v[84:87]// 000000009210: D3D70054 1D522170
	buffer_load_dwordx4 a[48:51], v45, s[24:27], 0 offen       // 000000009218: E05C1000 8086302D
	v_mfma_i32_16x16x32_i8 v[84:87], a[114:115], a[18:19], v[84:87]// 000000009220: D3D70054 1D522572
	v_mfma_i32_16x16x32_i8 v[84:87], a[116:117], a[20:21], v[84:87]// 000000009228: D3D70054 1D522974
	v_mfma_i32_16x16x32_i8 v[84:87], a[118:119], a[22:23], v[84:87]// 000000009230: D3D70054 1D522D76
	v_mfma_i32_16x16x32_i8 v[92:95], a[120:121], a[16:17], v[92:95]// 000000009238: D3D7005C 1D722178
	buffer_load_dwordx4 a[52:55], v45, s[24:27], 0 offen offset:1024// 000000009240: E05C1400 8086342D
	v_mfma_i32_16x16x32_i8 v[92:95], a[122:123], a[18:19], v[92:95]// 000000009248: D3D7005C 1D72257A
	v_mfma_i32_16x16x32_i8 v[92:95], a[124:125], a[20:21], v[92:95]// 000000009250: D3D7005C 1D72297C
	v_mfma_i32_16x16x32_i8 v[92:95], a[126:127], a[22:23], v[92:95]// 000000009258: D3D7005C 1D722D7E
	v_mfma_i32_16x16x32_i8 v[56:59], a[80:81], a[24:25], v[56:59]// 000000009260: D3D70038 1CE23150
	buffer_load_dwordx4 a[56:59], v46, s[24:27], 0 offen       // 000000009268: E05C1000 8086382E
	v_mfma_i32_16x16x32_i8 v[56:59], a[82:83], a[26:27], v[56:59]// 000000009270: D3D70038 1CE23552
	v_mfma_i32_16x16x32_i8 v[56:59], a[84:85], a[28:29], v[56:59]// 000000009278: D3D70038 1CE23954
	v_mfma_i32_16x16x32_i8 v[56:59], a[86:87], a[30:31], v[56:59]// 000000009280: D3D70038 1CE23D56
	v_mfma_i32_16x16x32_i8 v[64:67], a[88:89], a[24:25], v[64:67]// 000000009288: D3D70040 1D023158
	buffer_load_dwordx4 a[60:63], v46, s[24:27], 0 offen offset:1024// 000000009290: E05C1400 80863C2E
	v_mfma_i32_16x16x32_i8 v[64:67], a[90:91], a[26:27], v[64:67]// 000000009298: D3D70040 1D02355A
	v_mfma_i32_16x16x32_i8 v[64:67], a[92:93], a[28:29], v[64:67]// 0000000092A0: D3D70040 1D02395C
	v_mfma_i32_16x16x32_i8 v[64:67], a[94:95], a[30:31], v[64:67]// 0000000092A8: D3D70040 1D023D5E
	v_mfma_i32_16x16x32_i8 v[72:75], a[96:97], a[24:25], v[72:75]// 0000000092B0: D3D70048 1D223160
	buffer_load_dwordx4 a[64:67], v47, s[24:27], 0 offen       // 0000000092B8: E05C1000 8086402F
	v_mfma_i32_16x16x32_i8 v[72:75], a[98:99], a[26:27], v[72:75]// 0000000092C0: D3D70048 1D223562
	v_mfma_i32_16x16x32_i8 v[72:75], a[100:101], a[28:29], v[72:75]// 0000000092C8: D3D70048 1D223964
	v_mfma_i32_16x16x32_i8 v[72:75], a[102:103], a[30:31], v[72:75]// 0000000092D0: D3D70048 1D223D66
	v_mfma_i32_16x16x32_i8 v[80:83], a[104:105], a[24:25], v[80:83]// 0000000092D8: D3D70050 1D423168
	buffer_load_dwordx4 a[68:71], v47, s[24:27], 0 offen offset:1024// 0000000092E0: E05C1400 8086442F
	v_mfma_i32_16x16x32_i8 v[80:83], a[106:107], a[26:27], v[80:83]// 0000000092E8: D3D70050 1D42356A
	v_mfma_i32_16x16x32_i8 v[80:83], a[108:109], a[28:29], v[80:83]// 0000000092F0: D3D70050 1D42396C
	v_mfma_i32_16x16x32_i8 v[80:83], a[110:111], a[30:31], v[80:83]// 0000000092F8: D3D70050 1D423D6E
	v_mfma_i32_16x16x32_i8 v[88:91], a[112:113], a[24:25], v[88:91]// 000000009300: D3D70058 1D623170
	buffer_load_dwordx4 a[72:75], v48, s[24:27], 0 offen       // 000000009308: E05C1000 80864830
	v_mfma_i32_16x16x32_i8 v[88:91], a[114:115], a[26:27], v[88:91]// 000000009310: D3D70058 1D623572
	v_mfma_i32_16x16x32_i8 v[88:91], a[116:117], a[28:29], v[88:91]// 000000009318: D3D70058 1D623974
	v_mfma_i32_16x16x32_i8 v[88:91], a[118:119], a[30:31], v[88:91]// 000000009320: D3D70058 1D623D76
	v_mfma_i32_16x16x32_i8 v[96:99], a[120:121], a[24:25], v[96:99]// 000000009328: D3D70060 1D823178
	buffer_load_dwordx4 a[76:79], v48, s[24:27], 0 offen offset:1024// 000000009330: E05C1400 80864C30
	buffer_load_dword v39, s[20:23], 0 offen lds               // 000000009338: E0511000 80050027
	s_add_u32 m0, 0x100, s49                                   // 000000009340: 807C31FF 00000100
	v_mfma_i32_16x16x32_i8 v[96:99], a[122:123], a[26:27], v[96:99]// 000000009348: D3D70060 1D82357A
	v_mfma_i32_16x16x32_i8 v[96:99], a[124:125], a[28:29], v[96:99]// 000000009350: D3D70060 1D82397C
	buffer_load_dword v40, s[20:23], 0 offen lds               // 000000009358: E0511000 80050028
	s_add_u32 m0, 0x200, s49                                   // 000000009360: 807C31FF 00000200
	v_mfma_i32_16x16x32_i8 v[96:99], a[126:127], a[30:31], v[96:99]// 000000009368: D3D70060 1D823D7E
	buffer_load_dword v41, s[20:23], 0 offen lds               // 000000009370: E0511000 80050029
	s_add_u32 m0, 0x300, s49                                   // 000000009378: 807C31FF 00000300
	buffer_load_dword v42, s[20:23], 0 offen lds               // 000000009380: E0511000 8005002A
	s_add_u32 m0, 0, s50                                       // 000000009388: 807C3280
	s_waitcnt vmcnt(16)                                        // 00000000938C: BF8C4F70
	s_barrier                                                  // 000000009390: BF8A0000
	v_mfma_i32_16x16x32_i8 v[100:103], a[128:129], a[16:17], v[100:103]// 000000009394: D3D70064 1D922180
	buffer_load_dwordx4 a[80:83], v43, s[84:87], 0 offen       // 00000000939C: E05C1000 8095502B
	v_mfma_i32_16x16x32_i8 v[100:103], a[130:131], a[18:19], v[100:103]// 0000000093A4: D3D70064 1D922582
	v_mfma_i32_16x16x32_i8 v[100:103], a[132:133], a[20:21], v[100:103]// 0000000093AC: D3D70064 1D922984
	ds_read_b128 a[0:3], v2                                    // 0000000093B4: DBFE0000 00000002
	ds_read_b128 a[4:7], v2 offset:64                          // 0000000093BC: DBFE0040 04000002
	v_mfma_i32_16x16x32_i8 v[100:103], a[134:135], a[22:23], v[100:103]// 0000000093C4: D3D70064 1D922D86
	v_mfma_i32_16x16x32_i8 v[108:111], a[136:137], a[16:17], v[108:111]// 0000000093CC: D3D7006C 1DB22188
	buffer_load_dwordx4 a[84:87], v43, s[84:87], 0 offen offset:1024// 0000000093D4: E05C1400 8095542B
	v_mfma_i32_16x16x32_i8 v[108:111], a[138:139], a[18:19], v[108:111]// 0000000093DC: D3D7006C 1DB2258A
	v_mfma_i32_16x16x32_i8 v[108:111], a[140:141], a[20:21], v[108:111]// 0000000093E4: D3D7006C 1DB2298C
	ds_read_b128 a[8:11], v2 offset:512                        // 0000000093EC: DBFE0200 08000002
	ds_read_b128 a[12:15], v2 offset:576                       // 0000000093F4: DBFE0240 0C000002
	v_mfma_i32_16x16x32_i8 v[108:111], a[142:143], a[22:23], v[108:111]// 0000000093FC: D3D7006C 1DB22D8E
	v_mfma_i32_16x16x32_i8 v[116:119], a[144:145], a[16:17], v[116:119]// 000000009404: D3D70074 1DD22190
	buffer_load_dwordx4 a[88:91], v44, s[84:87], 0 offen       // 00000000940C: E05C1000 8095582C
	v_mfma_i32_16x16x32_i8 v[116:119], a[146:147], a[18:19], v[116:119]// 000000009414: D3D70074 1DD22592
	v_mfma_i32_16x16x32_i8 v[116:119], a[148:149], a[20:21], v[116:119]// 00000000941C: D3D70074 1DD22994
	v_mfma_i32_16x16x32_i8 v[116:119], a[150:151], a[22:23], v[116:119]// 000000009424: D3D70074 1DD22D96
	v_mfma_i32_16x16x32_i8 v[124:127], a[152:153], a[16:17], v[124:127]// 00000000942C: D3D7007C 1DF22198
	buffer_load_dwordx4 a[92:95], v44, s[84:87], 0 offen offset:1024// 000000009434: E05C1400 80955C2C
	v_mfma_i32_16x16x32_i8 v[124:127], a[154:155], a[18:19], v[124:127]// 00000000943C: D3D7007C 1DF2259A
	v_mfma_i32_16x16x32_i8 v[124:127], a[156:157], a[20:21], v[124:127]// 000000009444: D3D7007C 1DF2299C
	v_mfma_i32_16x16x32_i8 v[124:127], a[158:159], a[22:23], v[124:127]// 00000000944C: D3D7007C 1DF22D9E
	v_mfma_i32_16x16x32_i8 v[132:135], a[160:161], a[16:17], v[132:135]// 000000009454: D3D70084 1E1221A0
	buffer_load_dwordx4 a[96:99], v45, s[84:87], 0 offen       // 00000000945C: E05C1000 8095602D
	v_mfma_i32_16x16x32_i8 v[132:135], a[162:163], a[18:19], v[132:135]// 000000009464: D3D70084 1E1225A2
	v_mfma_i32_16x16x32_i8 v[132:135], a[164:165], a[20:21], v[132:135]// 00000000946C: D3D70084 1E1229A4
	v_mfma_i32_16x16x32_i8 v[132:135], a[166:167], a[22:23], v[132:135]// 000000009474: D3D70084 1E122DA6
	v_mfma_i32_16x16x32_i8 v[140:143], a[168:169], a[16:17], v[140:143]// 00000000947C: D3D7008C 1E3221A8
	buffer_load_dwordx4 a[100:103], v45, s[84:87], 0 offen offset:1024// 000000009484: E05C1400 8095642D
	v_mfma_i32_16x16x32_i8 v[140:143], a[170:171], a[18:19], v[140:143]// 00000000948C: D3D7008C 1E3225AA
	v_mfma_i32_16x16x32_i8 v[140:143], a[172:173], a[20:21], v[140:143]// 000000009494: D3D7008C 1E3229AC
	v_mfma_i32_16x16x32_i8 v[140:143], a[174:175], a[22:23], v[140:143]// 00000000949C: D3D7008C 1E322DAE
	v_mfma_i32_16x16x32_i8 v[104:107], a[128:129], a[24:25], v[104:107]// 0000000094A4: D3D70068 1DA23180
	buffer_load_dwordx4 a[104:107], v46, s[84:87], 0 offen     // 0000000094AC: E05C1000 8095682E
	v_mfma_i32_16x16x32_i8 v[104:107], a[130:131], a[26:27], v[104:107]// 0000000094B4: D3D70068 1DA23582
	v_mfma_i32_16x16x32_i8 v[104:107], a[132:133], a[28:29], v[104:107]// 0000000094BC: D3D70068 1DA23984
	v_mfma_i32_16x16x32_i8 v[104:107], a[134:135], a[30:31], v[104:107]// 0000000094C4: D3D70068 1DA23D86
	v_mfma_i32_16x16x32_i8 v[112:115], a[136:137], a[24:25], v[112:115]// 0000000094CC: D3D70070 1DC23188
	buffer_load_dwordx4 a[108:111], v46, s[84:87], 0 offen offset:1024// 0000000094D4: E05C1400 80956C2E
	v_mfma_i32_16x16x32_i8 v[112:115], a[138:139], a[26:27], v[112:115]// 0000000094DC: D3D70070 1DC2358A
	v_mfma_i32_16x16x32_i8 v[112:115], a[140:141], a[28:29], v[112:115]// 0000000094E4: D3D70070 1DC2398C
	v_mfma_i32_16x16x32_i8 v[112:115], a[142:143], a[30:31], v[112:115]// 0000000094EC: D3D70070 1DC23D8E
	v_mfma_i32_16x16x32_i8 v[120:123], a[144:145], a[24:25], v[120:123]// 0000000094F4: D3D70078 1DE23190
	buffer_load_dwordx4 a[112:115], v47, s[84:87], 0 offen     // 0000000094FC: E05C1000 8095702F
	v_mfma_i32_16x16x32_i8 v[120:123], a[146:147], a[26:27], v[120:123]// 000000009504: D3D70078 1DE23592
	v_mfma_i32_16x16x32_i8 v[120:123], a[148:149], a[28:29], v[120:123]// 00000000950C: D3D70078 1DE23994
	v_mfma_i32_16x16x32_i8 v[120:123], a[150:151], a[30:31], v[120:123]// 000000009514: D3D70078 1DE23D96
	v_mfma_i32_16x16x32_i8 v[128:131], a[152:153], a[24:25], v[128:131]// 00000000951C: D3D70080 1E023198
	buffer_load_dwordx4 a[116:119], v47, s[84:87], 0 offen offset:1024// 000000009524: E05C1400 8095742F
	v_mfma_i32_16x16x32_i8 v[128:131], a[154:155], a[26:27], v[128:131]// 00000000952C: D3D70080 1E02359A
	v_mfma_i32_16x16x32_i8 v[128:131], a[156:157], a[28:29], v[128:131]// 000000009534: D3D70080 1E02399C
	v_mfma_i32_16x16x32_i8 v[128:131], a[158:159], a[30:31], v[128:131]// 00000000953C: D3D70080 1E023D9E
	v_mfma_i32_16x16x32_i8 v[136:139], a[160:161], a[24:25], v[136:139]// 000000009544: D3D70088 1E2231A0
	buffer_load_dwordx4 a[120:123], v48, s[84:87], 0 offen     // 00000000954C: E05C1000 80957830
	s_add_u32 s60, 0x180, s80                                  // 000000009554: 803C50FF 00000180
	s_cmp_lt_u32 s60, s81                                      // 00000000955C: BF0A513C
	s_cselect_b32 s57, s57, 0                                  // 000000009560: 85398039
	v_mfma_i32_16x16x32_i8 v[136:139], a[162:163], a[26:27], v[136:139]// 000000009564: D3D70088 1E2235A2
	s_add_u32 s60, 0x100, s80                                  // 00000000956C: 803C50FF 00000100
	s_cmp_lt_u32 s60, s81                                      // 000000009574: BF0A513C
	s_cselect_b32 s58, s58, 0                                  // 000000009578: 853A803A
	v_mfma_i32_16x16x32_i8 v[136:139], a[164:165], a[28:29], v[136:139]// 00000000957C: D3D70088 1E2239A4
	s_add_u32 s60, 0x100, s80                                  // 000000009584: 803C50FF 00000100
	s_cmp_lt_u32 s60, s81                                      // 00000000958C: BF0A513C
	s_cselect_b32 s83, s83, 0                                  // 000000009590: 85538053
	v_mfma_i32_16x16x32_i8 v[136:139], a[166:167], a[30:31], v[136:139]// 000000009594: D3D70088 1E223DA6
	s_add_u32 s24, s58, s24                                    // 00000000959C: 8018183A
	s_addc_u32 s25, 0, s25                                     // 0000000095A0: 82191980
	v_mfma_i32_16x16x32_i8 v[144:147], a[168:169], a[24:25], v[144:147]// 0000000095A4: D3D70090 1E4231A8
	buffer_load_dwordx4 a[124:127], v48, s[84:87], 0 offen offset:1024// 0000000095AC: E05C1400 80957C30
	s_add_u32 s20, s57, s20                                    // 0000000095B4: 80141439
	s_addc_u32 s21, 0, s21                                     // 0000000095B8: 82151580
	v_mfma_i32_16x16x32_i8 v[144:147], a[170:171], a[26:27], v[144:147]// 0000000095BC: D3D70090 1E4235AA
	s_add_u32 s84, s83, s84                                    // 0000000095C4: 80545453
	s_addc_u32 s85, 0, s85                                     // 0000000095C8: 82555580
	v_mfma_i32_16x16x32_i8 v[144:147], a[172:173], a[28:29], v[144:147]// 0000000095CC: D3D70090 1E4239AC
	v_mfma_i32_16x16x32_i8 v[144:147], a[174:175], a[30:31], v[144:147]// 0000000095D4: D3D70090 1E423DAE
	s_addk_i32 s80, 0x80                                       // 0000000095DC: B7500080
	s_cmp_lt_i32 s80, s81                                      // 0000000095E0: BF045150
	s_cbranch_scc0 label_1A7E                                  // 0000000095E4: BF840001
	s_branch label_13C3                                        // 0000000095E8: BF82F945

00000000000095ec <label_1A7E>:
	v_cvt_f32_i32_e32 v52, v52                                 // 0000000095EC: 7E680B34
	v_cvt_f32_i32_e32 v53, v53                                 // 0000000095F0: 7E6A0B35
	v_cvt_f32_i32_e32 v54, v54                                 // 0000000095F4: 7E6C0B36
	v_cvt_f32_i32_e32 v55, v55                                 // 0000000095F8: 7E6E0B37
	v_mul_f32_dpp v52, v25, v52 row_newbcast:0 row_mask:0xf bank_mask:0xf// 0000000095FC: 0A6868FA FF015019
	v_mul_f32_dpp v53, v25, v53 row_newbcast:1 row_mask:0xf bank_mask:0xf// 000000009604: 0A6A6AFA FF015119
	v_mul_f32_dpp v54, v25, v54 row_newbcast:2 row_mask:0xf bank_mask:0xf// 00000000960C: 0A6C6CFA FF015219
	v_mul_f32_dpp v55, v25, v55 row_newbcast:3 row_mask:0xf bank_mask:0xf// 000000009614: 0A6E6EFA FF015319
	v_cvt_f32_i32_e32 v56, v56                                 // 00000000961C: 7E700B38
	v_cvt_f32_i32_e32 v57, v57                                 // 000000009620: 7E720B39
	v_cvt_f32_i32_e32 v58, v58                                 // 000000009624: 7E740B3A
	v_cvt_f32_i32_e32 v59, v59                                 // 000000009628: 7E760B3B
	v_mul_f32_dpp v56, v25, v56 row_newbcast:0 row_mask:0xf bank_mask:0xf// 00000000962C: 0A7070FA FF015019
	v_mul_f32_dpp v57, v25, v57 row_newbcast:1 row_mask:0xf bank_mask:0xf// 000000009634: 0A7272FA FF015119
	v_mul_f32_dpp v58, v25, v58 row_newbcast:2 row_mask:0xf bank_mask:0xf// 00000000963C: 0A7474FA FF015219
	v_mul_f32_dpp v59, v25, v59 row_newbcast:3 row_mask:0xf bank_mask:0xf// 000000009644: 0A7676FA FF015319
	v_cvt_f32_i32_e32 v60, v60                                 // 00000000964C: 7E780B3C
	v_cvt_f32_i32_e32 v61, v61                                 // 000000009650: 7E7A0B3D
	v_cvt_f32_i32_e32 v62, v62                                 // 000000009654: 7E7C0B3E
	v_cvt_f32_i32_e32 v63, v63                                 // 000000009658: 7E7E0B3F
	v_mul_f32_dpp v60, v25, v60 row_newbcast:4 row_mask:0xf bank_mask:0xf// 00000000965C: 0A7878FA FF015419
	v_mul_f32_dpp v61, v25, v61 row_newbcast:5 row_mask:0xf bank_mask:0xf// 000000009664: 0A7A7AFA FF015519
	v_mul_f32_dpp v62, v25, v62 row_newbcast:6 row_mask:0xf bank_mask:0xf// 00000000966C: 0A7C7CFA FF015619
	v_mul_f32_dpp v63, v25, v63 row_newbcast:7 row_mask:0xf bank_mask:0xf// 000000009674: 0A7E7EFA FF015719
	v_cvt_f32_i32_e32 v64, v64                                 // 00000000967C: 7E800B40
	v_cvt_f32_i32_e32 v65, v65                                 // 000000009680: 7E820B41
	v_cvt_f32_i32_e32 v66, v66                                 // 000000009684: 7E840B42
	v_cvt_f32_i32_e32 v67, v67                                 // 000000009688: 7E860B43
	v_mul_f32_dpp v64, v25, v64 row_newbcast:4 row_mask:0xf bank_mask:0xf// 00000000968C: 0A8080FA FF015419
	v_mul_f32_dpp v65, v25, v65 row_newbcast:5 row_mask:0xf bank_mask:0xf// 000000009694: 0A8282FA FF015519
	v_mul_f32_dpp v66, v25, v66 row_newbcast:6 row_mask:0xf bank_mask:0xf// 00000000969C: 0A8484FA FF015619
	v_mul_f32_dpp v67, v25, v67 row_newbcast:7 row_mask:0xf bank_mask:0xf// 0000000096A4: 0A8686FA FF015719
	v_cvt_f32_i32_e32 v68, v68                                 // 0000000096AC: 7E880B44
	v_cvt_f32_i32_e32 v69, v69                                 // 0000000096B0: 7E8A0B45
	v_cvt_f32_i32_e32 v70, v70                                 // 0000000096B4: 7E8C0B46
	v_cvt_f32_i32_e32 v71, v71                                 // 0000000096B8: 7E8E0B47
	v_mul_f32_dpp v68, v25, v68 row_newbcast:8 row_mask:0xf bank_mask:0xf// 0000000096BC: 0A8888FA FF015819
	v_mul_f32_dpp v69, v25, v69 row_newbcast:9 row_mask:0xf bank_mask:0xf// 0000000096C4: 0A8A8AFA FF015919
	v_mul_f32_dpp v70, v25, v70 row_newbcast:10 row_mask:0xf bank_mask:0xf// 0000000096CC: 0A8C8CFA FF015A19
	v_mul_f32_dpp v71, v25, v71 row_newbcast:11 row_mask:0xf bank_mask:0xf// 0000000096D4: 0A8E8EFA FF015B19
	v_cvt_f32_i32_e32 v72, v72                                 // 0000000096DC: 7E900B48
	v_cvt_f32_i32_e32 v73, v73                                 // 0000000096E0: 7E920B49
	v_cvt_f32_i32_e32 v74, v74                                 // 0000000096E4: 7E940B4A
	v_cvt_f32_i32_e32 v75, v75                                 // 0000000096E8: 7E960B4B
	v_mul_f32_dpp v72, v25, v72 row_newbcast:8 row_mask:0xf bank_mask:0xf// 0000000096EC: 0A9090FA FF015819
	v_mul_f32_dpp v73, v25, v73 row_newbcast:9 row_mask:0xf bank_mask:0xf// 0000000096F4: 0A9292FA FF015919
	v_mul_f32_dpp v74, v25, v74 row_newbcast:10 row_mask:0xf bank_mask:0xf// 0000000096FC: 0A9494FA FF015A19
	v_mul_f32_dpp v75, v25, v75 row_newbcast:11 row_mask:0xf bank_mask:0xf// 000000009704: 0A9696FA FF015B19
	v_cvt_f32_i32_e32 v76, v76                                 // 00000000970C: 7E980B4C
	v_cvt_f32_i32_e32 v77, v77                                 // 000000009710: 7E9A0B4D
	v_cvt_f32_i32_e32 v78, v78                                 // 000000009714: 7E9C0B4E
	v_cvt_f32_i32_e32 v79, v79                                 // 000000009718: 7E9E0B4F
	v_mul_f32_dpp v76, v25, v76 row_newbcast:12 row_mask:0xf bank_mask:0xf// 00000000971C: 0A9898FA FF015C19
	v_mul_f32_dpp v77, v25, v77 row_newbcast:13 row_mask:0xf bank_mask:0xf// 000000009724: 0A9A9AFA FF015D19
	v_mul_f32_dpp v78, v25, v78 row_newbcast:14 row_mask:0xf bank_mask:0xf// 00000000972C: 0A9C9CFA FF015E19
	v_mul_f32_dpp v79, v25, v79 row_newbcast:15 row_mask:0xf bank_mask:0xf// 000000009734: 0A9E9EFA FF015F19
	v_cvt_f32_i32_e32 v80, v80                                 // 00000000973C: 7EA00B50
	v_cvt_f32_i32_e32 v81, v81                                 // 000000009740: 7EA20B51
	v_cvt_f32_i32_e32 v82, v82                                 // 000000009744: 7EA40B52
	v_cvt_f32_i32_e32 v83, v83                                 // 000000009748: 7EA60B53
	v_mul_f32_dpp v80, v25, v80 row_newbcast:12 row_mask:0xf bank_mask:0xf// 00000000974C: 0AA0A0FA FF015C19
	v_mul_f32_dpp v81, v25, v81 row_newbcast:13 row_mask:0xf bank_mask:0xf// 000000009754: 0AA2A2FA FF015D19
	v_mul_f32_dpp v82, v25, v82 row_newbcast:14 row_mask:0xf bank_mask:0xf// 00000000975C: 0AA4A4FA FF015E19
	v_mul_f32_dpp v83, v25, v83 row_newbcast:15 row_mask:0xf bank_mask:0xf// 000000009764: 0AA6A6FA FF015F19
	v_cvt_f32_i32_e32 v84, v84                                 // 00000000976C: 7EA80B54
	v_cvt_f32_i32_e32 v85, v85                                 // 000000009770: 7EAA0B55
	v_cvt_f32_i32_e32 v86, v86                                 // 000000009774: 7EAC0B56
	v_cvt_f32_i32_e32 v87, v87                                 // 000000009778: 7EAE0B57
	v_mul_f32_dpp v84, v26, v84 row_newbcast:0 row_mask:0xf bank_mask:0xf// 00000000977C: 0AA8A8FA FF01501A
	v_mul_f32_dpp v85, v26, v85 row_newbcast:1 row_mask:0xf bank_mask:0xf// 000000009784: 0AAAAAFA FF01511A
	v_mul_f32_dpp v86, v26, v86 row_newbcast:2 row_mask:0xf bank_mask:0xf// 00000000978C: 0AACACFA FF01521A
	v_mul_f32_dpp v87, v26, v87 row_newbcast:3 row_mask:0xf bank_mask:0xf// 000000009794: 0AAEAEFA FF01531A
	v_cvt_f32_i32_e32 v88, v88                                 // 00000000979C: 7EB00B58
	v_cvt_f32_i32_e32 v89, v89                                 // 0000000097A0: 7EB20B59
	v_cvt_f32_i32_e32 v90, v90                                 // 0000000097A4: 7EB40B5A
	v_cvt_f32_i32_e32 v91, v91                                 // 0000000097A8: 7EB60B5B
	v_mul_f32_dpp v88, v26, v88 row_newbcast:0 row_mask:0xf bank_mask:0xf// 0000000097AC: 0AB0B0FA FF01501A
	v_mul_f32_dpp v89, v26, v89 row_newbcast:1 row_mask:0xf bank_mask:0xf// 0000000097B4: 0AB2B2FA FF01511A
	v_mul_f32_dpp v90, v26, v90 row_newbcast:2 row_mask:0xf bank_mask:0xf// 0000000097BC: 0AB4B4FA FF01521A
	v_mul_f32_dpp v91, v26, v91 row_newbcast:3 row_mask:0xf bank_mask:0xf// 0000000097C4: 0AB6B6FA FF01531A
	v_cvt_f32_i32_e32 v92, v92                                 // 0000000097CC: 7EB80B5C
	v_cvt_f32_i32_e32 v93, v93                                 // 0000000097D0: 7EBA0B5D
	v_cvt_f32_i32_e32 v94, v94                                 // 0000000097D4: 7EBC0B5E
	v_cvt_f32_i32_e32 v95, v95                                 // 0000000097D8: 7EBE0B5F
	v_mul_f32_dpp v92, v26, v92 row_newbcast:4 row_mask:0xf bank_mask:0xf// 0000000097DC: 0AB8B8FA FF01541A
	v_mul_f32_dpp v93, v26, v93 row_newbcast:5 row_mask:0xf bank_mask:0xf// 0000000097E4: 0ABABAFA FF01551A
	v_mul_f32_dpp v94, v26, v94 row_newbcast:6 row_mask:0xf bank_mask:0xf// 0000000097EC: 0ABCBCFA FF01561A
	v_mul_f32_dpp v95, v26, v95 row_newbcast:7 row_mask:0xf bank_mask:0xf// 0000000097F4: 0ABEBEFA FF01571A
	v_cvt_f32_i32_e32 v96, v96                                 // 0000000097FC: 7EC00B60
	v_cvt_f32_i32_e32 v97, v97                                 // 000000009800: 7EC20B61
	v_cvt_f32_i32_e32 v98, v98                                 // 000000009804: 7EC40B62
	v_cvt_f32_i32_e32 v99, v99                                 // 000000009808: 7EC60B63
	v_mul_f32_dpp v96, v26, v96 row_newbcast:4 row_mask:0xf bank_mask:0xf// 00000000980C: 0AC0C0FA FF01541A
	v_mul_f32_dpp v97, v26, v97 row_newbcast:5 row_mask:0xf bank_mask:0xf// 000000009814: 0AC2C2FA FF01551A
	v_mul_f32_dpp v98, v26, v98 row_newbcast:6 row_mask:0xf bank_mask:0xf// 00000000981C: 0AC4C4FA FF01561A
	v_mul_f32_dpp v99, v26, v99 row_newbcast:7 row_mask:0xf bank_mask:0xf// 000000009824: 0AC6C6FA FF01571A
	v_cvt_f32_i32_e32 v100, v100                               // 00000000982C: 7EC80B64
	v_cvt_f32_i32_e32 v101, v101                               // 000000009830: 7ECA0B65
	v_cvt_f32_i32_e32 v102, v102                               // 000000009834: 7ECC0B66
	v_cvt_f32_i32_e32 v103, v103                               // 000000009838: 7ECE0B67
	v_mul_f32_dpp v100, v28, v100 row_newbcast:0 row_mask:0xf bank_mask:0xf// 00000000983C: 0AC8C8FA FF01501C
	v_mul_f32_dpp v101, v28, v101 row_newbcast:1 row_mask:0xf bank_mask:0xf// 000000009844: 0ACACAFA FF01511C
	v_mul_f32_dpp v102, v28, v102 row_newbcast:2 row_mask:0xf bank_mask:0xf// 00000000984C: 0ACCCCFA FF01521C
	v_mul_f32_dpp v103, v28, v103 row_newbcast:3 row_mask:0xf bank_mask:0xf// 000000009854: 0ACECEFA FF01531C
	v_cvt_f32_i32_e32 v104, v104                               // 00000000985C: 7ED00B68
	v_cvt_f32_i32_e32 v105, v105                               // 000000009860: 7ED20B69
	v_cvt_f32_i32_e32 v106, v106                               // 000000009864: 7ED40B6A
	v_cvt_f32_i32_e32 v107, v107                               // 000000009868: 7ED60B6B
	v_mul_f32_dpp v104, v28, v104 row_newbcast:0 row_mask:0xf bank_mask:0xf// 00000000986C: 0AD0D0FA FF01501C
	v_mul_f32_dpp v105, v28, v105 row_newbcast:1 row_mask:0xf bank_mask:0xf// 000000009874: 0AD2D2FA FF01511C
	v_mul_f32_dpp v106, v28, v106 row_newbcast:2 row_mask:0xf bank_mask:0xf// 00000000987C: 0AD4D4FA FF01521C
	v_mul_f32_dpp v107, v28, v107 row_newbcast:3 row_mask:0xf bank_mask:0xf// 000000009884: 0AD6D6FA FF01531C
	v_cvt_f32_i32_e32 v108, v108                               // 00000000988C: 7ED80B6C
	v_cvt_f32_i32_e32 v109, v109                               // 000000009890: 7EDA0B6D
	v_cvt_f32_i32_e32 v110, v110                               // 000000009894: 7EDC0B6E
	v_cvt_f32_i32_e32 v111, v111                               // 000000009898: 7EDE0B6F
	v_mul_f32_dpp v108, v28, v108 row_newbcast:4 row_mask:0xf bank_mask:0xf// 00000000989C: 0AD8D8FA FF01541C
	v_mul_f32_dpp v109, v28, v109 row_newbcast:5 row_mask:0xf bank_mask:0xf// 0000000098A4: 0ADADAFA FF01551C
	v_mul_f32_dpp v110, v28, v110 row_newbcast:6 row_mask:0xf bank_mask:0xf// 0000000098AC: 0ADCDCFA FF01561C
	v_mul_f32_dpp v111, v28, v111 row_newbcast:7 row_mask:0xf bank_mask:0xf// 0000000098B4: 0ADEDEFA FF01571C
	v_cvt_f32_i32_e32 v112, v112                               // 0000000098BC: 7EE00B70
	v_cvt_f32_i32_e32 v113, v113                               // 0000000098C0: 7EE20B71
	v_cvt_f32_i32_e32 v114, v114                               // 0000000098C4: 7EE40B72
	v_cvt_f32_i32_e32 v115, v115                               // 0000000098C8: 7EE60B73
	v_mul_f32_dpp v112, v28, v112 row_newbcast:4 row_mask:0xf bank_mask:0xf// 0000000098CC: 0AE0E0FA FF01541C
	v_mul_f32_dpp v113, v28, v113 row_newbcast:5 row_mask:0xf bank_mask:0xf// 0000000098D4: 0AE2E2FA FF01551C
	v_mul_f32_dpp v114, v28, v114 row_newbcast:6 row_mask:0xf bank_mask:0xf// 0000000098DC: 0AE4E4FA FF01561C
	v_mul_f32_dpp v115, v28, v115 row_newbcast:7 row_mask:0xf bank_mask:0xf// 0000000098E4: 0AE6E6FA FF01571C
	v_cvt_f32_i32_e32 v116, v116                               // 0000000098EC: 7EE80B74
	v_cvt_f32_i32_e32 v117, v117                               // 0000000098F0: 7EEA0B75
	v_cvt_f32_i32_e32 v118, v118                               // 0000000098F4: 7EEC0B76
	v_cvt_f32_i32_e32 v119, v119                               // 0000000098F8: 7EEE0B77
	v_mul_f32_dpp v116, v28, v116 row_newbcast:8 row_mask:0xf bank_mask:0xf// 0000000098FC: 0AE8E8FA FF01581C
	v_mul_f32_dpp v117, v28, v117 row_newbcast:9 row_mask:0xf bank_mask:0xf// 000000009904: 0AEAEAFA FF01591C
	v_mul_f32_dpp v118, v28, v118 row_newbcast:10 row_mask:0xf bank_mask:0xf// 00000000990C: 0AECECFA FF015A1C
	v_mul_f32_dpp v119, v28, v119 row_newbcast:11 row_mask:0xf bank_mask:0xf// 000000009914: 0AEEEEFA FF015B1C
	v_cvt_f32_i32_e32 v120, v120                               // 00000000991C: 7EF00B78
	v_cvt_f32_i32_e32 v121, v121                               // 000000009920: 7EF20B79
	v_cvt_f32_i32_e32 v122, v122                               // 000000009924: 7EF40B7A
	v_cvt_f32_i32_e32 v123, v123                               // 000000009928: 7EF60B7B
	v_mul_f32_dpp v120, v28, v120 row_newbcast:8 row_mask:0xf bank_mask:0xf// 00000000992C: 0AF0F0FA FF01581C
	v_mul_f32_dpp v121, v28, v121 row_newbcast:9 row_mask:0xf bank_mask:0xf// 000000009934: 0AF2F2FA FF01591C
	v_mul_f32_dpp v122, v28, v122 row_newbcast:10 row_mask:0xf bank_mask:0xf// 00000000993C: 0AF4F4FA FF015A1C
	v_mul_f32_dpp v123, v28, v123 row_newbcast:11 row_mask:0xf bank_mask:0xf// 000000009944: 0AF6F6FA FF015B1C
	v_cvt_f32_i32_e32 v124, v124                               // 00000000994C: 7EF80B7C
	v_cvt_f32_i32_e32 v125, v125                               // 000000009950: 7EFA0B7D
	v_cvt_f32_i32_e32 v126, v126                               // 000000009954: 7EFC0B7E
	v_cvt_f32_i32_e32 v127, v127                               // 000000009958: 7EFE0B7F
	v_mul_f32_dpp v124, v28, v124 row_newbcast:12 row_mask:0xf bank_mask:0xf// 00000000995C: 0AF8F8FA FF015C1C
	v_mul_f32_dpp v125, v28, v125 row_newbcast:13 row_mask:0xf bank_mask:0xf// 000000009964: 0AFAFAFA FF015D1C
	v_mul_f32_dpp v126, v28, v126 row_newbcast:14 row_mask:0xf bank_mask:0xf// 00000000996C: 0AFCFCFA FF015E1C
	v_mul_f32_dpp v127, v28, v127 row_newbcast:15 row_mask:0xf bank_mask:0xf// 000000009974: 0AFEFEFA FF015F1C
	v_cvt_f32_i32_e32 v128, v128                               // 00000000997C: 7F000B80
	v_cvt_f32_i32_e32 v129, v129                               // 000000009980: 7F020B81
	v_cvt_f32_i32_e32 v130, v130                               // 000000009984: 7F040B82
	v_cvt_f32_i32_e32 v131, v131                               // 000000009988: 7F060B83
	v_mul_f32_dpp v128, v28, v128 row_newbcast:12 row_mask:0xf bank_mask:0xf// 00000000998C: 0B0100FA FF015C1C
	v_mul_f32_dpp v129, v28, v129 row_newbcast:13 row_mask:0xf bank_mask:0xf// 000000009994: 0B0302FA FF015D1C
	v_mul_f32_dpp v130, v28, v130 row_newbcast:14 row_mask:0xf bank_mask:0xf// 00000000999C: 0B0504FA FF015E1C
	v_mul_f32_dpp v131, v28, v131 row_newbcast:15 row_mask:0xf bank_mask:0xf// 0000000099A4: 0B0706FA FF015F1C
	v_cvt_f32_i32_e32 v132, v132                               // 0000000099AC: 7F080B84
	v_cvt_f32_i32_e32 v133, v133                               // 0000000099B0: 7F0A0B85
	v_cvt_f32_i32_e32 v134, v134                               // 0000000099B4: 7F0C0B86
	v_cvt_f32_i32_e32 v135, v135                               // 0000000099B8: 7F0E0B87
	v_mul_f32_dpp v132, v29, v132 row_newbcast:0 row_mask:0xf bank_mask:0xf// 0000000099BC: 0B0908FA FF01501D
	v_mul_f32_dpp v133, v29, v133 row_newbcast:1 row_mask:0xf bank_mask:0xf// 0000000099C4: 0B0B0AFA FF01511D
	v_mul_f32_dpp v134, v29, v134 row_newbcast:2 row_mask:0xf bank_mask:0xf// 0000000099CC: 0B0D0CFA FF01521D
	v_mul_f32_dpp v135, v29, v135 row_newbcast:3 row_mask:0xf bank_mask:0xf// 0000000099D4: 0B0F0EFA FF01531D
	v_cvt_f32_i32_e32 v136, v136                               // 0000000099DC: 7F100B88
	v_cvt_f32_i32_e32 v137, v137                               // 0000000099E0: 7F120B89
	v_cvt_f32_i32_e32 v138, v138                               // 0000000099E4: 7F140B8A
	v_cvt_f32_i32_e32 v139, v139                               // 0000000099E8: 7F160B8B
	v_mul_f32_dpp v136, v29, v136 row_newbcast:0 row_mask:0xf bank_mask:0xf// 0000000099EC: 0B1110FA FF01501D
	v_mul_f32_dpp v137, v29, v137 row_newbcast:1 row_mask:0xf bank_mask:0xf// 0000000099F4: 0B1312FA FF01511D
	v_mul_f32_dpp v138, v29, v138 row_newbcast:2 row_mask:0xf bank_mask:0xf// 0000000099FC: 0B1514FA FF01521D
	v_mul_f32_dpp v139, v29, v139 row_newbcast:3 row_mask:0xf bank_mask:0xf// 000000009A04: 0B1716FA FF01531D
	v_cvt_f32_i32_e32 v140, v140                               // 000000009A0C: 7F180B8C
	v_cvt_f32_i32_e32 v141, v141                               // 000000009A10: 7F1A0B8D
	v_cvt_f32_i32_e32 v142, v142                               // 000000009A14: 7F1C0B8E
	v_cvt_f32_i32_e32 v143, v143                               // 000000009A18: 7F1E0B8F
	v_mul_f32_dpp v140, v29, v140 row_newbcast:4 row_mask:0xf bank_mask:0xf// 000000009A1C: 0B1918FA FF01541D
	v_mul_f32_dpp v141, v29, v141 row_newbcast:5 row_mask:0xf bank_mask:0xf// 000000009A24: 0B1B1AFA FF01551D
	v_mul_f32_dpp v142, v29, v142 row_newbcast:6 row_mask:0xf bank_mask:0xf// 000000009A2C: 0B1D1CFA FF01561D
	v_mul_f32_dpp v143, v29, v143 row_newbcast:7 row_mask:0xf bank_mask:0xf// 000000009A34: 0B1F1EFA FF01571D
	v_cvt_f32_i32_e32 v144, v144                               // 000000009A3C: 7F200B90
	v_cvt_f32_i32_e32 v145, v145                               // 000000009A40: 7F220B91
	v_cvt_f32_i32_e32 v146, v146                               // 000000009A44: 7F240B92
	v_cvt_f32_i32_e32 v147, v147                               // 000000009A48: 7F260B93
	v_mul_f32_dpp v144, v29, v144 row_newbcast:4 row_mask:0xf bank_mask:0xf// 000000009A4C: 0B2120FA FF01541D
	v_mul_f32_dpp v145, v29, v145 row_newbcast:5 row_mask:0xf bank_mask:0xf// 000000009A54: 0B2322FA FF01551D
	v_mul_f32_dpp v146, v29, v146 row_newbcast:6 row_mask:0xf bank_mask:0xf// 000000009A5C: 0B2524FA FF01561D
	v_mul_f32_dpp v147, v29, v147 row_newbcast:7 row_mask:0xf bank_mask:0xf// 000000009A64: 0B2726FA FF01571D
	v_mov_b32_e32 v4, v33                                      // 000000009A6C: 7E080321
	v_mov_b32_e32 v5, v4                                       // 000000009A70: 7E0A0304
	v_pk_mul_f32 v[52:53], v[4:5], v[52:53]                    // 000000009A74: D3B14034 18026904
	v_pk_mul_f32 v[100:101], v[4:5], v[100:101]                // 000000009A7C: D3B14064 1802C904
	v_pk_mul_f32 v[54:55], v[4:5], v[54:55]                    // 000000009A84: D3B14036 18026D04
	v_pk_mul_f32 v[102:103], v[4:5], v[102:103]                // 000000009A8C: D3B14066 1802CD04
	v_pk_mul_f32 v[60:61], v[4:5], v[60:61]                    // 000000009A94: D3B1403C 18027904
	v_pk_mul_f32 v[108:109], v[4:5], v[108:109]                // 000000009A9C: D3B1406C 1802D904
	v_pk_mul_f32 v[62:63], v[4:5], v[62:63]                    // 000000009AA4: D3B1403E 18027D04
	v_pk_mul_f32 v[110:111], v[4:5], v[110:111]                // 000000009AAC: D3B1406E 1802DD04
	v_pk_mul_f32 v[68:69], v[4:5], v[68:69]                    // 000000009AB4: D3B14044 18028904
	v_pk_mul_f32 v[116:117], v[4:5], v[116:117]                // 000000009ABC: D3B14074 1802E904
	v_pk_mul_f32 v[70:71], v[4:5], v[70:71]                    // 000000009AC4: D3B14046 18028D04
	v_pk_mul_f32 v[118:119], v[4:5], v[118:119]                // 000000009ACC: D3B14076 1802ED04
	v_pk_mul_f32 v[76:77], v[4:5], v[76:77]                    // 000000009AD4: D3B1404C 18029904
	v_pk_mul_f32 v[124:125], v[4:5], v[124:125]                // 000000009ADC: D3B1407C 1802F904
	v_pk_mul_f32 v[78:79], v[4:5], v[78:79]                    // 000000009AE4: D3B1404E 18029D04
	v_pk_mul_f32 v[126:127], v[4:5], v[126:127]                // 000000009AEC: D3B1407E 1802FD04
	v_pk_mul_f32 v[84:85], v[4:5], v[84:85]                    // 000000009AF4: D3B14054 1802A904
	v_pk_mul_f32 v[132:133], v[4:5], v[132:133]                // 000000009AFC: D3B14084 18030904
	v_pk_mul_f32 v[86:87], v[4:5], v[86:87]                    // 000000009B04: D3B14056 1802AD04
	v_pk_mul_f32 v[134:135], v[4:5], v[134:135]                // 000000009B0C: D3B14086 18030D04
	v_pk_mul_f32 v[92:93], v[4:5], v[92:93]                    // 000000009B14: D3B1405C 1802B904
	v_pk_mul_f32 v[140:141], v[4:5], v[140:141]                // 000000009B1C: D3B1408C 18031904
	v_pk_mul_f32 v[94:95], v[4:5], v[94:95]                    // 000000009B24: D3B1405E 1802BD04
	v_pk_mul_f32 v[142:143], v[4:5], v[142:143]                // 000000009B2C: D3B1408E 18031D04
	v_mov_b32_e32 v4, v34                                      // 000000009B34: 7E080322
	v_mov_b32_e32 v5, v4                                       // 000000009B38: 7E0A0304
	v_pk_mul_f32 v[56:57], v[4:5], v[56:57]                    // 000000009B3C: D3B14038 18027104
	v_pk_mul_f32 v[104:105], v[4:5], v[104:105]                // 000000009B44: D3B14068 1802D104
	v_pk_mul_f32 v[58:59], v[4:5], v[58:59]                    // 000000009B4C: D3B1403A 18027504
	v_pk_mul_f32 v[106:107], v[4:5], v[106:107]                // 000000009B54: D3B1406A 1802D504
	v_pk_mul_f32 v[64:65], v[4:5], v[64:65]                    // 000000009B5C: D3B14040 18028104
	v_pk_mul_f32 v[112:113], v[4:5], v[112:113]                // 000000009B64: D3B14070 1802E104
	v_pk_mul_f32 v[66:67], v[4:5], v[66:67]                    // 000000009B6C: D3B14042 18028504
	v_pk_mul_f32 v[114:115], v[4:5], v[114:115]                // 000000009B74: D3B14072 1802E504
	v_pk_mul_f32 v[72:73], v[4:5], v[72:73]                    // 000000009B7C: D3B14048 18029104
	v_pk_mul_f32 v[120:121], v[4:5], v[120:121]                // 000000009B84: D3B14078 1802F104
	v_pk_mul_f32 v[74:75], v[4:5], v[74:75]                    // 000000009B8C: D3B1404A 18029504
	v_pk_mul_f32 v[122:123], v[4:5], v[122:123]                // 000000009B94: D3B1407A 1802F504
	v_pk_mul_f32 v[80:81], v[4:5], v[80:81]                    // 000000009B9C: D3B14050 1802A104
	v_pk_mul_f32 v[128:129], v[4:5], v[128:129]                // 000000009BA4: D3B14080 18030104
	v_pk_mul_f32 v[82:83], v[4:5], v[82:83]                    // 000000009BAC: D3B14052 1802A504
	v_pk_mul_f32 v[130:131], v[4:5], v[130:131]                // 000000009BB4: D3B14082 18030504
	v_pk_mul_f32 v[88:89], v[4:5], v[88:89]                    // 000000009BBC: D3B14058 1802B104
	v_pk_mul_f32 v[136:137], v[4:5], v[136:137]                // 000000009BC4: D3B14088 18031104
	v_pk_mul_f32 v[90:91], v[4:5], v[90:91]                    // 000000009BCC: D3B1405A 1802B504
	v_pk_mul_f32 v[138:139], v[4:5], v[138:139]                // 000000009BD4: D3B1408A 18031504
	v_pk_mul_f32 v[96:97], v[4:5], v[96:97]                    // 000000009BDC: D3B14060 1802C104
	v_pk_mul_f32 v[144:145], v[4:5], v[144:145]                // 000000009BE4: D3B14090 18032104
	v_pk_mul_f32 v[98:99], v[4:5], v[98:99]                    // 000000009BEC: D3B14062 1802C504
	v_pk_mul_f32 v[146:147], v[4:5], v[146:147]                // 000000009BF4: D3B14092 18032504
	s_cmp_eq_u32 s88, 0                                        // 000000009BFC: BF068058
	s_cbranch_scc0 label_21E5                                  // 000000009C00: BF8405E1
	s_cmp_eq_u32 s89, 0                                        // 000000009C04: BF068059
	s_cbranch_scc1 label_1DEB                                  // 000000009C08: BF8501E5
	v_mov_b32_e32 v8, v1                                       // 000000009C0C: 7E100301
	v_mov_b32_e32 v9, v1                                       // 000000009C10: 7E120301
	s_mov_b32 s60, s6                                          // 000000009C14: BEBC0006
	s_mov_b32 s61, s6                                          // 000000009C18: BEBD0006
	v_pk_mul_f32 v[4:5], v[52:53], v[52:53]                    // 000000009C1C: D3B14004 18026934
	v_pk_mul_f32 v[6:7], v[54:55], v[54:55]                    // 000000009C24: D3B14006 18026D36
	v_pk_fma_f32 v[4:5], v[4:5], s[78:79], v[8:9]              // 000000009C2C: D3B04004 1C209D04
	v_pk_fma_f32 v[6:7], v[6:7], s[78:79], v[8:9]              // 000000009C34: D3B04006 1C209D06
	v_pk_mul_f32 v[4:5], v[4:5], v[52:53]                      // 000000009C3C: D3B14004 18026904
	v_pk_mul_f32 v[6:7], v[6:7], v[54:55]                      // 000000009C44: D3B14006 18026D06
	v_pk_mul_f32 v[4:5], v[4:5], s[60:61]                      // 000000009C4C: D3B14004 18007904
	v_pk_mul_f32 v[6:7], v[6:7], s[60:61]                      // 000000009C54: D3B14006 18007906
	v_exp_f32_e32 v4, v4                                       // 000000009C5C: 7E084104
	v_exp_f32_e32 v5, v5                                       // 000000009C60: 7E0A4105
	v_exp_f32_e32 v6, v6                                       // 000000009C64: 7E0C4106
	v_exp_f32_e32 v7, v7                                       // 000000009C68: 7E0E4107
	v_add_f32_e64 v4, v4, 1.0                                  // 000000009C6C: D1010004 0001E504
	v_add_f32_e64 v5, v5, 1.0                                  // 000000009C74: D1010005 0001E505
	v_add_f32_e64 v6, v6, 1.0                                  // 000000009C7C: D1010006 0001E506
	v_add_f32_e64 v7, v7, 1.0                                  // 000000009C84: D1010007 0001E507
	v_rcp_f32_e32 v4, v4                                       // 000000009C8C: 7E084504
	v_rcp_f32_e32 v5, v5                                       // 000000009C90: 7E0A4505
	v_rcp_f32_e32 v6, v6                                       // 000000009C94: 7E0C4506
	v_rcp_f32_e32 v7, v7                                       // 000000009C98: 7E0E4507
	v_mul_f32_e32 v52, v52, v4                                 // 000000009C9C: 0A680934
	v_mul_f32_e32 v53, v53, v5                                 // 000000009CA0: 0A6A0B35
	v_mul_f32_e32 v54, v54, v6                                 // 000000009CA4: 0A6C0D36
	v_mul_f32_e32 v55, v55, v7                                 // 000000009CA8: 0A6E0F37
	v_mul_f32_e32 v52, v52, v100                               // 000000009CAC: 0A68C934
	v_mul_f32_e32 v53, v53, v101                               // 000000009CB0: 0A6ACB35
	v_mul_f32_e32 v54, v54, v102                               // 000000009CB4: 0A6CCD36
	v_mul_f32_e32 v55, v55, v103                               // 000000009CB8: 0A6ECF37
	v_pk_mul_f32 v[4:5], v[56:57], v[56:57]                    // 000000009CBC: D3B14004 18027138
	v_pk_mul_f32 v[6:7], v[58:59], v[58:59]                    // 000000009CC4: D3B14006 1802753A
	v_pk_fma_f32 v[4:5], v[4:5], s[78:79], v[8:9]              // 000000009CCC: D3B04004 1C209D04
	v_pk_fma_f32 v[6:7], v[6:7], s[78:79], v[8:9]              // 000000009CD4: D3B04006 1C209D06
	v_pk_mul_f32 v[4:5], v[4:5], v[56:57]                      // 000000009CDC: D3B14004 18027104
	v_pk_mul_f32 v[6:7], v[6:7], v[58:59]                      // 000000009CE4: D3B14006 18027506
	v_pk_mul_f32 v[4:5], v[4:5], s[60:61]                      // 000000009CEC: D3B14004 18007904
	v_pk_mul_f32 v[6:7], v[6:7], s[60:61]                      // 000000009CF4: D3B14006 18007906
	v_exp_f32_e32 v4, v4                                       // 000000009CFC: 7E084104
	v_exp_f32_e32 v5, v5                                       // 000000009D00: 7E0A4105
	v_exp_f32_e32 v6, v6                                       // 000000009D04: 7E0C4106
	v_exp_f32_e32 v7, v7                                       // 000000009D08: 7E0E4107
	v_add_f32_e64 v4, v4, 1.0                                  // 000000009D0C: D1010004 0001E504
	v_add_f32_e64 v5, v5, 1.0                                  // 000000009D14: D1010005 0001E505
	v_add_f32_e64 v6, v6, 1.0                                  // 000000009D1C: D1010006 0001E506
	v_add_f32_e64 v7, v7, 1.0                                  // 000000009D24: D1010007 0001E507
	v_rcp_f32_e32 v4, v4                                       // 000000009D2C: 7E084504
	v_rcp_f32_e32 v5, v5                                       // 000000009D30: 7E0A4505
	v_rcp_f32_e32 v6, v6                                       // 000000009D34: 7E0C4506
	v_rcp_f32_e32 v7, v7                                       // 000000009D38: 7E0E4507
	v_mul_f32_e32 v56, v56, v4                                 // 000000009D3C: 0A700938
	v_mul_f32_e32 v57, v57, v5                                 // 000000009D40: 0A720B39
	v_mul_f32_e32 v58, v58, v6                                 // 000000009D44: 0A740D3A
	v_mul_f32_e32 v59, v59, v7                                 // 000000009D48: 0A760F3B
	v_mul_f32_e32 v56, v56, v104                               // 000000009D4C: 0A70D138
	v_mul_f32_e32 v57, v57, v105                               // 000000009D50: 0A72D339
	v_mul_f32_e32 v58, v58, v106                               // 000000009D54: 0A74D53A
	v_mul_f32_e32 v59, v59, v107                               // 000000009D58: 0A76D73B
	v_pk_mul_f32 v[4:5], v[60:61], v[60:61]                    // 000000009D5C: D3B14004 1802793C
	v_pk_mul_f32 v[6:7], v[62:63], v[62:63]                    // 000000009D64: D3B14006 18027D3E
	v_pk_fma_f32 v[4:5], v[4:5], s[78:79], v[8:9]              // 000000009D6C: D3B04004 1C209D04
	v_pk_fma_f32 v[6:7], v[6:7], s[78:79], v[8:9]              // 000000009D74: D3B04006 1C209D06
	v_pk_mul_f32 v[4:5], v[4:5], v[60:61]                      // 000000009D7C: D3B14004 18027904
	v_pk_mul_f32 v[6:7], v[6:7], v[62:63]                      // 000000009D84: D3B14006 18027D06
	v_pk_mul_f32 v[4:5], v[4:5], s[60:61]                      // 000000009D8C: D3B14004 18007904
	v_pk_mul_f32 v[6:7], v[6:7], s[60:61]                      // 000000009D94: D3B14006 18007906
	v_exp_f32_e32 v4, v4                                       // 000000009D9C: 7E084104
	v_exp_f32_e32 v5, v5                                       // 000000009DA0: 7E0A4105
	v_exp_f32_e32 v6, v6                                       // 000000009DA4: 7E0C4106
	v_exp_f32_e32 v7, v7                                       // 000000009DA8: 7E0E4107
	v_add_f32_e64 v4, v4, 1.0                                  // 000000009DAC: D1010004 0001E504
	v_add_f32_e64 v5, v5, 1.0                                  // 000000009DB4: D1010005 0001E505
	v_add_f32_e64 v6, v6, 1.0                                  // 000000009DBC: D1010006 0001E506
	v_add_f32_e64 v7, v7, 1.0                                  // 000000009DC4: D1010007 0001E507
	v_rcp_f32_e32 v4, v4                                       // 000000009DCC: 7E084504
	v_rcp_f32_e32 v5, v5                                       // 000000009DD0: 7E0A4505
	v_rcp_f32_e32 v6, v6                                       // 000000009DD4: 7E0C4506
	v_rcp_f32_e32 v7, v7                                       // 000000009DD8: 7E0E4507
	v_mul_f32_e32 v60, v60, v4                                 // 000000009DDC: 0A78093C
	v_mul_f32_e32 v61, v61, v5                                 // 000000009DE0: 0A7A0B3D
	v_mul_f32_e32 v62, v62, v6                                 // 000000009DE4: 0A7C0D3E
	v_mul_f32_e32 v63, v63, v7                                 // 000000009DE8: 0A7E0F3F
	v_mul_f32_e32 v60, v60, v108                               // 000000009DEC: 0A78D93C
	v_mul_f32_e32 v61, v61, v109                               // 000000009DF0: 0A7ADB3D
	v_mul_f32_e32 v62, v62, v110                               // 000000009DF4: 0A7CDD3E
	v_mul_f32_e32 v63, v63, v111                               // 000000009DF8: 0A7EDF3F
	v_pk_mul_f32 v[4:5], v[64:65], v[64:65]                    // 000000009DFC: D3B14004 18028140
	v_pk_mul_f32 v[6:7], v[66:67], v[66:67]                    // 000000009E04: D3B14006 18028542
	v_pk_fma_f32 v[4:5], v[4:5], s[78:79], v[8:9]              // 000000009E0C: D3B04004 1C209D04
	v_pk_fma_f32 v[6:7], v[6:7], s[78:79], v[8:9]              // 000000009E14: D3B04006 1C209D06
	v_pk_mul_f32 v[4:5], v[4:5], v[64:65]                      // 000000009E1C: D3B14004 18028104
	v_pk_mul_f32 v[6:7], v[6:7], v[66:67]                      // 000000009E24: D3B14006 18028506
	v_pk_mul_f32 v[4:5], v[4:5], s[60:61]                      // 000000009E2C: D3B14004 18007904
	v_pk_mul_f32 v[6:7], v[6:7], s[60:61]                      // 000000009E34: D3B14006 18007906
	v_exp_f32_e32 v4, v4                                       // 000000009E3C: 7E084104
	v_exp_f32_e32 v5, v5                                       // 000000009E40: 7E0A4105
	v_exp_f32_e32 v6, v6                                       // 000000009E44: 7E0C4106
	v_exp_f32_e32 v7, v7                                       // 000000009E48: 7E0E4107
	v_add_f32_e64 v4, v4, 1.0                                  // 000000009E4C: D1010004 0001E504
	v_add_f32_e64 v5, v5, 1.0                                  // 000000009E54: D1010005 0001E505
	v_add_f32_e64 v6, v6, 1.0                                  // 000000009E5C: D1010006 0001E506
	v_add_f32_e64 v7, v7, 1.0                                  // 000000009E64: D1010007 0001E507
	v_rcp_f32_e32 v4, v4                                       // 000000009E6C: 7E084504
	v_rcp_f32_e32 v5, v5                                       // 000000009E70: 7E0A4505
	v_rcp_f32_e32 v6, v6                                       // 000000009E74: 7E0C4506
	v_rcp_f32_e32 v7, v7                                       // 000000009E78: 7E0E4507
	v_mul_f32_e32 v64, v64, v4                                 // 000000009E7C: 0A800940
	v_mul_f32_e32 v65, v65, v5                                 // 000000009E80: 0A820B41
	v_mul_f32_e32 v66, v66, v6                                 // 000000009E84: 0A840D42
	v_mul_f32_e32 v67, v67, v7                                 // 000000009E88: 0A860F43
	v_mul_f32_e32 v64, v64, v112                               // 000000009E8C: 0A80E140
	v_mul_f32_e32 v65, v65, v113                               // 000000009E90: 0A82E341
	v_mul_f32_e32 v66, v66, v114                               // 000000009E94: 0A84E542
	v_mul_f32_e32 v67, v67, v115                               // 000000009E98: 0A86E743
	v_pk_mul_f32 v[4:5], v[68:69], v[68:69]                    // 000000009E9C: D3B14004 18028944
	v_pk_mul_f32 v[6:7], v[70:71], v[70:71]                    // 000000009EA4: D3B14006 18028D46
	v_pk_fma_f32 v[4:5], v[4:5], s[78:79], v[8:9]              // 000000009EAC: D3B04004 1C209D04
	v_pk_fma_f32 v[6:7], v[6:7], s[78:79], v[8:9]              // 000000009EB4: D3B04006 1C209D06
	v_pk_mul_f32 v[4:5], v[4:5], v[68:69]                      // 000000009EBC: D3B14004 18028904
	v_pk_mul_f32 v[6:7], v[6:7], v[70:71]                      // 000000009EC4: D3B14006 18028D06
	v_pk_mul_f32 v[4:5], v[4:5], s[60:61]                      // 000000009ECC: D3B14004 18007904
	v_pk_mul_f32 v[6:7], v[6:7], s[60:61]                      // 000000009ED4: D3B14006 18007906
	v_exp_f32_e32 v4, v4                                       // 000000009EDC: 7E084104
	v_exp_f32_e32 v5, v5                                       // 000000009EE0: 7E0A4105
	v_exp_f32_e32 v6, v6                                       // 000000009EE4: 7E0C4106
	v_exp_f32_e32 v7, v7                                       // 000000009EE8: 7E0E4107
	v_add_f32_e64 v4, v4, 1.0                                  // 000000009EEC: D1010004 0001E504
	v_add_f32_e64 v5, v5, 1.0                                  // 000000009EF4: D1010005 0001E505
	v_add_f32_e64 v6, v6, 1.0                                  // 000000009EFC: D1010006 0001E506
	v_add_f32_e64 v7, v7, 1.0                                  // 000000009F04: D1010007 0001E507
	v_rcp_f32_e32 v4, v4                                       // 000000009F0C: 7E084504
	v_rcp_f32_e32 v5, v5                                       // 000000009F10: 7E0A4505
	v_rcp_f32_e32 v6, v6                                       // 000000009F14: 7E0C4506
	v_rcp_f32_e32 v7, v7                                       // 000000009F18: 7E0E4507
	v_mul_f32_e32 v68, v68, v4                                 // 000000009F1C: 0A880944
	v_mul_f32_e32 v69, v69, v5                                 // 000000009F20: 0A8A0B45
	v_mul_f32_e32 v70, v70, v6                                 // 000000009F24: 0A8C0D46
	v_mul_f32_e32 v71, v71, v7                                 // 000000009F28: 0A8E0F47
	v_mul_f32_e32 v68, v68, v116                               // 000000009F2C: 0A88E944
	v_mul_f32_e32 v69, v69, v117                               // 000000009F30: 0A8AEB45
	v_mul_f32_e32 v70, v70, v118                               // 000000009F34: 0A8CED46
	v_mul_f32_e32 v71, v71, v119                               // 000000009F38: 0A8EEF47
	v_pk_mul_f32 v[4:5], v[72:73], v[72:73]                    // 000000009F3C: D3B14004 18029148
	v_pk_mul_f32 v[6:7], v[74:75], v[74:75]                    // 000000009F44: D3B14006 1802954A
	v_pk_fma_f32 v[4:5], v[4:5], s[78:79], v[8:9]              // 000000009F4C: D3B04004 1C209D04
	v_pk_fma_f32 v[6:7], v[6:7], s[78:79], v[8:9]              // 000000009F54: D3B04006 1C209D06
	v_pk_mul_f32 v[4:5], v[4:5], v[72:73]                      // 000000009F5C: D3B14004 18029104
	v_pk_mul_f32 v[6:7], v[6:7], v[74:75]                      // 000000009F64: D3B14006 18029506
	v_pk_mul_f32 v[4:5], v[4:5], s[60:61]                      // 000000009F6C: D3B14004 18007904
	v_pk_mul_f32 v[6:7], v[6:7], s[60:61]                      // 000000009F74: D3B14006 18007906
	v_exp_f32_e32 v4, v4                                       // 000000009F7C: 7E084104
	v_exp_f32_e32 v5, v5                                       // 000000009F80: 7E0A4105
	v_exp_f32_e32 v6, v6                                       // 000000009F84: 7E0C4106
	v_exp_f32_e32 v7, v7                                       // 000000009F88: 7E0E4107
	v_add_f32_e64 v4, v4, 1.0                                  // 000000009F8C: D1010004 0001E504
	v_add_f32_e64 v5, v5, 1.0                                  // 000000009F94: D1010005 0001E505
	v_add_f32_e64 v6, v6, 1.0                                  // 000000009F9C: D1010006 0001E506
	v_add_f32_e64 v7, v7, 1.0                                  // 000000009FA4: D1010007 0001E507
	v_rcp_f32_e32 v4, v4                                       // 000000009FAC: 7E084504
	v_rcp_f32_e32 v5, v5                                       // 000000009FB0: 7E0A4505
	v_rcp_f32_e32 v6, v6                                       // 000000009FB4: 7E0C4506
	v_rcp_f32_e32 v7, v7                                       // 000000009FB8: 7E0E4507
	v_mul_f32_e32 v72, v72, v4                                 // 000000009FBC: 0A900948
	v_mul_f32_e32 v73, v73, v5                                 // 000000009FC0: 0A920B49
	v_mul_f32_e32 v74, v74, v6                                 // 000000009FC4: 0A940D4A
	v_mul_f32_e32 v75, v75, v7                                 // 000000009FC8: 0A960F4B
	v_mul_f32_e32 v72, v72, v120                               // 000000009FCC: 0A90F148
	v_mul_f32_e32 v73, v73, v121                               // 000000009FD0: 0A92F349
	v_mul_f32_e32 v74, v74, v122                               // 000000009FD4: 0A94F54A
	v_mul_f32_e32 v75, v75, v123                               // 000000009FD8: 0A96F74B
	v_pk_mul_f32 v[4:5], v[76:77], v[76:77]                    // 000000009FDC: D3B14004 1802994C
	v_pk_mul_f32 v[6:7], v[78:79], v[78:79]                    // 000000009FE4: D3B14006 18029D4E
	v_pk_fma_f32 v[4:5], v[4:5], s[78:79], v[8:9]              // 000000009FEC: D3B04004 1C209D04
	v_pk_fma_f32 v[6:7], v[6:7], s[78:79], v[8:9]              // 000000009FF4: D3B04006 1C209D06
	v_pk_mul_f32 v[4:5], v[4:5], v[76:77]                      // 000000009FFC: D3B14004 18029904
	v_pk_mul_f32 v[6:7], v[6:7], v[78:79]                      // 00000000A004: D3B14006 18029D06
	v_pk_mul_f32 v[4:5], v[4:5], s[60:61]                      // 00000000A00C: D3B14004 18007904
	v_pk_mul_f32 v[6:7], v[6:7], s[60:61]                      // 00000000A014: D3B14006 18007906
	v_exp_f32_e32 v4, v4                                       // 00000000A01C: 7E084104
	v_exp_f32_e32 v5, v5                                       // 00000000A020: 7E0A4105
	v_exp_f32_e32 v6, v6                                       // 00000000A024: 7E0C4106
	v_exp_f32_e32 v7, v7                                       // 00000000A028: 7E0E4107
	v_add_f32_e64 v4, v4, 1.0                                  // 00000000A02C: D1010004 0001E504
	v_add_f32_e64 v5, v5, 1.0                                  // 00000000A034: D1010005 0001E505
	v_add_f32_e64 v6, v6, 1.0                                  // 00000000A03C: D1010006 0001E506
	v_add_f32_e64 v7, v7, 1.0                                  // 00000000A044: D1010007 0001E507
	v_rcp_f32_e32 v4, v4                                       // 00000000A04C: 7E084504
	v_rcp_f32_e32 v5, v5                                       // 00000000A050: 7E0A4505
	v_rcp_f32_e32 v6, v6                                       // 00000000A054: 7E0C4506
	v_rcp_f32_e32 v7, v7                                       // 00000000A058: 7E0E4507
	v_mul_f32_e32 v76, v76, v4                                 // 00000000A05C: 0A98094C
	v_mul_f32_e32 v77, v77, v5                                 // 00000000A060: 0A9A0B4D
	v_mul_f32_e32 v78, v78, v6                                 // 00000000A064: 0A9C0D4E
	v_mul_f32_e32 v79, v79, v7                                 // 00000000A068: 0A9E0F4F
	v_mul_f32_e32 v76, v76, v124                               // 00000000A06C: 0A98F94C
	v_mul_f32_e32 v77, v77, v125                               // 00000000A070: 0A9AFB4D
	v_mul_f32_e32 v78, v78, v126                               // 00000000A074: 0A9CFD4E
	v_mul_f32_e32 v79, v79, v127                               // 00000000A078: 0A9EFF4F
	v_pk_mul_f32 v[4:5], v[80:81], v[80:81]                    // 00000000A07C: D3B14004 1802A150
	v_pk_mul_f32 v[6:7], v[82:83], v[82:83]                    // 00000000A084: D3B14006 1802A552
	v_pk_fma_f32 v[4:5], v[4:5], s[78:79], v[8:9]              // 00000000A08C: D3B04004 1C209D04
	v_pk_fma_f32 v[6:7], v[6:7], s[78:79], v[8:9]              // 00000000A094: D3B04006 1C209D06
	v_pk_mul_f32 v[4:5], v[4:5], v[80:81]                      // 00000000A09C: D3B14004 1802A104
	v_pk_mul_f32 v[6:7], v[6:7], v[82:83]                      // 00000000A0A4: D3B14006 1802A506
	v_pk_mul_f32 v[4:5], v[4:5], s[60:61]                      // 00000000A0AC: D3B14004 18007904
	v_pk_mul_f32 v[6:7], v[6:7], s[60:61]                      // 00000000A0B4: D3B14006 18007906
	v_exp_f32_e32 v4, v4                                       // 00000000A0BC: 7E084104
	v_exp_f32_e32 v5, v5                                       // 00000000A0C0: 7E0A4105
	v_exp_f32_e32 v6, v6                                       // 00000000A0C4: 7E0C4106
	v_exp_f32_e32 v7, v7                                       // 00000000A0C8: 7E0E4107
	v_add_f32_e64 v4, v4, 1.0                                  // 00000000A0CC: D1010004 0001E504
	v_add_f32_e64 v5, v5, 1.0                                  // 00000000A0D4: D1010005 0001E505
	v_add_f32_e64 v6, v6, 1.0                                  // 00000000A0DC: D1010006 0001E506
	v_add_f32_e64 v7, v7, 1.0                                  // 00000000A0E4: D1010007 0001E507
	v_rcp_f32_e32 v4, v4                                       // 00000000A0EC: 7E084504
	v_rcp_f32_e32 v5, v5                                       // 00000000A0F0: 7E0A4505
	v_rcp_f32_e32 v6, v6                                       // 00000000A0F4: 7E0C4506
	v_rcp_f32_e32 v7, v7                                       // 00000000A0F8: 7E0E4507
	v_mul_f32_e32 v80, v80, v4                                 // 00000000A0FC: 0AA00950
	v_mul_f32_e32 v81, v81, v5                                 // 00000000A100: 0AA20B51
	v_mul_f32_e32 v82, v82, v6                                 // 00000000A104: 0AA40D52
	v_mul_f32_e32 v83, v83, v7                                 // 00000000A108: 0AA60F53
	v_mul_f32_e32 v80, v80, v128                               // 00000000A10C: 0AA10150
	v_mul_f32_e32 v81, v81, v129                               // 00000000A110: 0AA30351
	v_mul_f32_e32 v82, v82, v130                               // 00000000A114: 0AA50552
	v_mul_f32_e32 v83, v83, v131                               // 00000000A118: 0AA70753
	v_pk_mul_f32 v[4:5], v[84:85], v[84:85]                    // 00000000A11C: D3B14004 1802A954
	v_pk_mul_f32 v[6:7], v[86:87], v[86:87]                    // 00000000A124: D3B14006 1802AD56
	v_pk_fma_f32 v[4:5], v[4:5], s[78:79], v[8:9]              // 00000000A12C: D3B04004 1C209D04
	v_pk_fma_f32 v[6:7], v[6:7], s[78:79], v[8:9]              // 00000000A134: D3B04006 1C209D06
	v_pk_mul_f32 v[4:5], v[4:5], v[84:85]                      // 00000000A13C: D3B14004 1802A904
	v_pk_mul_f32 v[6:7], v[6:7], v[86:87]                      // 00000000A144: D3B14006 1802AD06
	v_pk_mul_f32 v[4:5], v[4:5], s[60:61]                      // 00000000A14C: D3B14004 18007904
	v_pk_mul_f32 v[6:7], v[6:7], s[60:61]                      // 00000000A154: D3B14006 18007906
	v_exp_f32_e32 v4, v4                                       // 00000000A15C: 7E084104
	v_exp_f32_e32 v5, v5                                       // 00000000A160: 7E0A4105
	v_exp_f32_e32 v6, v6                                       // 00000000A164: 7E0C4106
	v_exp_f32_e32 v7, v7                                       // 00000000A168: 7E0E4107
	v_add_f32_e64 v4, v4, 1.0                                  // 00000000A16C: D1010004 0001E504
	v_add_f32_e64 v5, v5, 1.0                                  // 00000000A174: D1010005 0001E505
	v_add_f32_e64 v6, v6, 1.0                                  // 00000000A17C: D1010006 0001E506
	v_add_f32_e64 v7, v7, 1.0                                  // 00000000A184: D1010007 0001E507
	v_rcp_f32_e32 v4, v4                                       // 00000000A18C: 7E084504
	v_rcp_f32_e32 v5, v5                                       // 00000000A190: 7E0A4505
	v_rcp_f32_e32 v6, v6                                       // 00000000A194: 7E0C4506
	v_rcp_f32_e32 v7, v7                                       // 00000000A198: 7E0E4507
	v_mul_f32_e32 v84, v84, v4                                 // 00000000A19C: 0AA80954
	v_mul_f32_e32 v85, v85, v5                                 // 00000000A1A0: 0AAA0B55
	v_mul_f32_e32 v86, v86, v6                                 // 00000000A1A4: 0AAC0D56
	v_mul_f32_e32 v87, v87, v7                                 // 00000000A1A8: 0AAE0F57
	v_mul_f32_e32 v84, v84, v132                               // 00000000A1AC: 0AA90954
	v_mul_f32_e32 v85, v85, v133                               // 00000000A1B0: 0AAB0B55
	v_mul_f32_e32 v86, v86, v134                               // 00000000A1B4: 0AAD0D56
	v_mul_f32_e32 v87, v87, v135                               // 00000000A1B8: 0AAF0F57
	v_pk_mul_f32 v[4:5], v[88:89], v[88:89]                    // 00000000A1BC: D3B14004 1802B158
	v_pk_mul_f32 v[6:7], v[90:91], v[90:91]                    // 00000000A1C4: D3B14006 1802B55A
	v_pk_fma_f32 v[4:5], v[4:5], s[78:79], v[8:9]              // 00000000A1CC: D3B04004 1C209D04
	v_pk_fma_f32 v[6:7], v[6:7], s[78:79], v[8:9]              // 00000000A1D4: D3B04006 1C209D06
	v_pk_mul_f32 v[4:5], v[4:5], v[88:89]                      // 00000000A1DC: D3B14004 1802B104
	v_pk_mul_f32 v[6:7], v[6:7], v[90:91]                      // 00000000A1E4: D3B14006 1802B506
	v_pk_mul_f32 v[4:5], v[4:5], s[60:61]                      // 00000000A1EC: D3B14004 18007904
	v_pk_mul_f32 v[6:7], v[6:7], s[60:61]                      // 00000000A1F4: D3B14006 18007906
	v_exp_f32_e32 v4, v4                                       // 00000000A1FC: 7E084104
	v_exp_f32_e32 v5, v5                                       // 00000000A200: 7E0A4105
	v_exp_f32_e32 v6, v6                                       // 00000000A204: 7E0C4106
	v_exp_f32_e32 v7, v7                                       // 00000000A208: 7E0E4107
	v_add_f32_e64 v4, v4, 1.0                                  // 00000000A20C: D1010004 0001E504
	v_add_f32_e64 v5, v5, 1.0                                  // 00000000A214: D1010005 0001E505
	v_add_f32_e64 v6, v6, 1.0                                  // 00000000A21C: D1010006 0001E506
	v_add_f32_e64 v7, v7, 1.0                                  // 00000000A224: D1010007 0001E507
	v_rcp_f32_e32 v4, v4                                       // 00000000A22C: 7E084504
	v_rcp_f32_e32 v5, v5                                       // 00000000A230: 7E0A4505
	v_rcp_f32_e32 v6, v6                                       // 00000000A234: 7E0C4506
	v_rcp_f32_e32 v7, v7                                       // 00000000A238: 7E0E4507
	v_mul_f32_e32 v88, v88, v4                                 // 00000000A23C: 0AB00958
	v_mul_f32_e32 v89, v89, v5                                 // 00000000A240: 0AB20B59
	v_mul_f32_e32 v90, v90, v6                                 // 00000000A244: 0AB40D5A
	v_mul_f32_e32 v91, v91, v7                                 // 00000000A248: 0AB60F5B
	v_mul_f32_e32 v88, v88, v136                               // 00000000A24C: 0AB11158
	v_mul_f32_e32 v89, v89, v137                               // 00000000A250: 0AB31359
	v_mul_f32_e32 v90, v90, v138                               // 00000000A254: 0AB5155A
	v_mul_f32_e32 v91, v91, v139                               // 00000000A258: 0AB7175B
	v_pk_mul_f32 v[4:5], v[92:93], v[92:93]                    // 00000000A25C: D3B14004 1802B95C
	v_pk_mul_f32 v[6:7], v[94:95], v[94:95]                    // 00000000A264: D3B14006 1802BD5E
	v_pk_fma_f32 v[4:5], v[4:5], s[78:79], v[8:9]              // 00000000A26C: D3B04004 1C209D04
	v_pk_fma_f32 v[6:7], v[6:7], s[78:79], v[8:9]              // 00000000A274: D3B04006 1C209D06
	v_pk_mul_f32 v[4:5], v[4:5], v[92:93]                      // 00000000A27C: D3B14004 1802B904
	v_pk_mul_f32 v[6:7], v[6:7], v[94:95]                      // 00000000A284: D3B14006 1802BD06
	v_pk_mul_f32 v[4:5], v[4:5], s[60:61]                      // 00000000A28C: D3B14004 18007904
	v_pk_mul_f32 v[6:7], v[6:7], s[60:61]                      // 00000000A294: D3B14006 18007906
	v_exp_f32_e32 v4, v4                                       // 00000000A29C: 7E084104
	v_exp_f32_e32 v5, v5                                       // 00000000A2A0: 7E0A4105
	v_exp_f32_e32 v6, v6                                       // 00000000A2A4: 7E0C4106
	v_exp_f32_e32 v7, v7                                       // 00000000A2A8: 7E0E4107
	v_add_f32_e64 v4, v4, 1.0                                  // 00000000A2AC: D1010004 0001E504
	v_add_f32_e64 v5, v5, 1.0                                  // 00000000A2B4: D1010005 0001E505
	v_add_f32_e64 v6, v6, 1.0                                  // 00000000A2BC: D1010006 0001E506
	v_add_f32_e64 v7, v7, 1.0                                  // 00000000A2C4: D1010007 0001E507
	v_rcp_f32_e32 v4, v4                                       // 00000000A2CC: 7E084504
	v_rcp_f32_e32 v5, v5                                       // 00000000A2D0: 7E0A4505
	v_rcp_f32_e32 v6, v6                                       // 00000000A2D4: 7E0C4506
	v_rcp_f32_e32 v7, v7                                       // 00000000A2D8: 7E0E4507
	v_mul_f32_e32 v92, v92, v4                                 // 00000000A2DC: 0AB8095C
	v_mul_f32_e32 v93, v93, v5                                 // 00000000A2E0: 0ABA0B5D
	v_mul_f32_e32 v94, v94, v6                                 // 00000000A2E4: 0ABC0D5E
	v_mul_f32_e32 v95, v95, v7                                 // 00000000A2E8: 0ABE0F5F
	v_mul_f32_e32 v92, v92, v140                               // 00000000A2EC: 0AB9195C
	v_mul_f32_e32 v93, v93, v141                               // 00000000A2F0: 0ABB1B5D
	v_mul_f32_e32 v94, v94, v142                               // 00000000A2F4: 0ABD1D5E
	v_mul_f32_e32 v95, v95, v143                               // 00000000A2F8: 0ABF1F5F
	v_pk_mul_f32 v[4:5], v[96:97], v[96:97]                    // 00000000A2FC: D3B14004 1802C160
	v_pk_mul_f32 v[6:7], v[98:99], v[98:99]                    // 00000000A304: D3B14006 1802C562
	v_pk_fma_f32 v[4:5], v[4:5], s[78:79], v[8:9]              // 00000000A30C: D3B04004 1C209D04
	v_pk_fma_f32 v[6:7], v[6:7], s[78:79], v[8:9]              // 00000000A314: D3B04006 1C209D06
	v_pk_mul_f32 v[4:5], v[4:5], v[96:97]                      // 00000000A31C: D3B14004 1802C104
	v_pk_mul_f32 v[6:7], v[6:7], v[98:99]                      // 00000000A324: D3B14006 1802C506
	v_pk_mul_f32 v[4:5], v[4:5], s[60:61]                      // 00000000A32C: D3B14004 18007904
	v_pk_mul_f32 v[6:7], v[6:7], s[60:61]                      // 00000000A334: D3B14006 18007906
	v_exp_f32_e32 v4, v4                                       // 00000000A33C: 7E084104
	v_exp_f32_e32 v5, v5                                       // 00000000A340: 7E0A4105
	v_exp_f32_e32 v6, v6                                       // 00000000A344: 7E0C4106
	v_exp_f32_e32 v7, v7                                       // 00000000A348: 7E0E4107
	v_add_f32_e64 v4, v4, 1.0                                  // 00000000A34C: D1010004 0001E504
	v_add_f32_e64 v5, v5, 1.0                                  // 00000000A354: D1010005 0001E505
	v_add_f32_e64 v6, v6, 1.0                                  // 00000000A35C: D1010006 0001E506
	v_add_f32_e64 v7, v7, 1.0                                  // 00000000A364: D1010007 0001E507
	v_rcp_f32_e32 v4, v4                                       // 00000000A36C: 7E084504
	v_rcp_f32_e32 v5, v5                                       // 00000000A370: 7E0A4505
	v_rcp_f32_e32 v6, v6                                       // 00000000A374: 7E0C4506
	v_rcp_f32_e32 v7, v7                                       // 00000000A378: 7E0E4507
	v_mul_f32_e32 v96, v96, v4                                 // 00000000A37C: 0AC00960
	v_mul_f32_e32 v97, v97, v5                                 // 00000000A380: 0AC20B61
	v_mul_f32_e32 v98, v98, v6                                 // 00000000A384: 0AC40D62
	v_mul_f32_e32 v99, v99, v7                                 // 00000000A388: 0AC60F63
	v_mul_f32_e32 v96, v96, v144                               // 00000000A38C: 0AC12160
	v_mul_f32_e32 v97, v97, v145                               // 00000000A390: 0AC32361
	v_mul_f32_e32 v98, v98, v146                               // 00000000A394: 0AC52562
	v_mul_f32_e32 v99, v99, v147                               // 00000000A398: 0AC72763
	s_branch label_1F6B                                        // 00000000A39C: BF820180

000000000000a3a0 <label_1DEB>:
	v_mul_f32_e64 v4, -v52, s6                                 // 00000000A3A0: D1050004 20000D34
	v_mul_f32_e64 v5, -v53, s6                                 // 00000000A3A8: D1050005 20000D35
	v_mul_f32_e64 v6, -v54, s6                                 // 00000000A3B0: D1050006 20000D36
	v_mul_f32_e64 v7, -v55, s6                                 // 00000000A3B8: D1050007 20000D37
	v_exp_f32_e32 v4, v4                                       // 00000000A3C0: 7E084104
	v_exp_f32_e32 v5, v5                                       // 00000000A3C4: 7E0A4105
	v_exp_f32_e32 v6, v6                                       // 00000000A3C8: 7E0C4106
	v_exp_f32_e32 v7, v7                                       // 00000000A3CC: 7E0E4107
	v_add_f32_e64 v4, v4, 1.0                                  // 00000000A3D0: D1010004 0001E504
	v_add_f32_e64 v5, v5, 1.0                                  // 00000000A3D8: D1010005 0001E505
	v_add_f32_e64 v6, v6, 1.0                                  // 00000000A3E0: D1010006 0001E506
	v_add_f32_e64 v7, v7, 1.0                                  // 00000000A3E8: D1010007 0001E507
	v_rcp_f32_e32 v4, v4                                       // 00000000A3F0: 7E084504
	v_rcp_f32_e32 v5, v5                                       // 00000000A3F4: 7E0A4505
	v_rcp_f32_e32 v6, v6                                       // 00000000A3F8: 7E0C4506
	v_rcp_f32_e32 v7, v7                                       // 00000000A3FC: 7E0E4507
	v_mul_f32_e32 v52, v52, v4                                 // 00000000A400: 0A680934
	v_mul_f32_e32 v53, v53, v5                                 // 00000000A404: 0A6A0B35
	v_mul_f32_e32 v54, v54, v6                                 // 00000000A408: 0A6C0D36
	v_mul_f32_e32 v55, v55, v7                                 // 00000000A40C: 0A6E0F37
	v_mul_f32_e32 v52, v52, v100                               // 00000000A410: 0A68C934
	v_mul_f32_e32 v53, v53, v101                               // 00000000A414: 0A6ACB35
	v_mul_f32_e32 v54, v54, v102                               // 00000000A418: 0A6CCD36
	v_mul_f32_e32 v55, v55, v103                               // 00000000A41C: 0A6ECF37
	v_mul_f32_e64 v4, -v56, s6                                 // 00000000A420: D1050004 20000D38
	v_mul_f32_e64 v5, -v57, s6                                 // 00000000A428: D1050005 20000D39
	v_mul_f32_e64 v6, -v58, s6                                 // 00000000A430: D1050006 20000D3A
	v_mul_f32_e64 v7, -v59, s6                                 // 00000000A438: D1050007 20000D3B
	v_exp_f32_e32 v4, v4                                       // 00000000A440: 7E084104
	v_exp_f32_e32 v5, v5                                       // 00000000A444: 7E0A4105
	v_exp_f32_e32 v6, v6                                       // 00000000A448: 7E0C4106
	v_exp_f32_e32 v7, v7                                       // 00000000A44C: 7E0E4107
	v_add_f32_e64 v4, v4, 1.0                                  // 00000000A450: D1010004 0001E504
	v_add_f32_e64 v5, v5, 1.0                                  // 00000000A458: D1010005 0001E505
	v_add_f32_e64 v6, v6, 1.0                                  // 00000000A460: D1010006 0001E506
	v_add_f32_e64 v7, v7, 1.0                                  // 00000000A468: D1010007 0001E507
	v_rcp_f32_e32 v4, v4                                       // 00000000A470: 7E084504
	v_rcp_f32_e32 v5, v5                                       // 00000000A474: 7E0A4505
	v_rcp_f32_e32 v6, v6                                       // 00000000A478: 7E0C4506
	v_rcp_f32_e32 v7, v7                                       // 00000000A47C: 7E0E4507
	v_mul_f32_e32 v56, v56, v4                                 // 00000000A480: 0A700938
	v_mul_f32_e32 v57, v57, v5                                 // 00000000A484: 0A720B39
	v_mul_f32_e32 v58, v58, v6                                 // 00000000A488: 0A740D3A
	v_mul_f32_e32 v59, v59, v7                                 // 00000000A48C: 0A760F3B
	v_mul_f32_e32 v56, v56, v104                               // 00000000A490: 0A70D138
	v_mul_f32_e32 v57, v57, v105                               // 00000000A494: 0A72D339
	v_mul_f32_e32 v58, v58, v106                               // 00000000A498: 0A74D53A
	v_mul_f32_e32 v59, v59, v107                               // 00000000A49C: 0A76D73B
	v_mul_f32_e64 v4, -v60, s6                                 // 00000000A4A0: D1050004 20000D3C
	v_mul_f32_e64 v5, -v61, s6                                 // 00000000A4A8: D1050005 20000D3D
	v_mul_f32_e64 v6, -v62, s6                                 // 00000000A4B0: D1050006 20000D3E
	v_mul_f32_e64 v7, -v63, s6                                 // 00000000A4B8: D1050007 20000D3F
	v_exp_f32_e32 v4, v4                                       // 00000000A4C0: 7E084104
	v_exp_f32_e32 v5, v5                                       // 00000000A4C4: 7E0A4105
	v_exp_f32_e32 v6, v6                                       // 00000000A4C8: 7E0C4106
	v_exp_f32_e32 v7, v7                                       // 00000000A4CC: 7E0E4107
	v_add_f32_e64 v4, v4, 1.0                                  // 00000000A4D0: D1010004 0001E504
	v_add_f32_e64 v5, v5, 1.0                                  // 00000000A4D8: D1010005 0001E505
	v_add_f32_e64 v6, v6, 1.0                                  // 00000000A4E0: D1010006 0001E506
	v_add_f32_e64 v7, v7, 1.0                                  // 00000000A4E8: D1010007 0001E507
	v_rcp_f32_e32 v4, v4                                       // 00000000A4F0: 7E084504
	v_rcp_f32_e32 v5, v5                                       // 00000000A4F4: 7E0A4505
	v_rcp_f32_e32 v6, v6                                       // 00000000A4F8: 7E0C4506
	v_rcp_f32_e32 v7, v7                                       // 00000000A4FC: 7E0E4507
	v_mul_f32_e32 v60, v60, v4                                 // 00000000A500: 0A78093C
	v_mul_f32_e32 v61, v61, v5                                 // 00000000A504: 0A7A0B3D
	v_mul_f32_e32 v62, v62, v6                                 // 00000000A508: 0A7C0D3E
	v_mul_f32_e32 v63, v63, v7                                 // 00000000A50C: 0A7E0F3F
	v_mul_f32_e32 v60, v60, v108                               // 00000000A510: 0A78D93C
	v_mul_f32_e32 v61, v61, v109                               // 00000000A514: 0A7ADB3D
	v_mul_f32_e32 v62, v62, v110                               // 00000000A518: 0A7CDD3E
	v_mul_f32_e32 v63, v63, v111                               // 00000000A51C: 0A7EDF3F
	v_mul_f32_e64 v4, -v64, s6                                 // 00000000A520: D1050004 20000D40
	v_mul_f32_e64 v5, -v65, s6                                 // 00000000A528: D1050005 20000D41
	v_mul_f32_e64 v6, -v66, s6                                 // 00000000A530: D1050006 20000D42
	v_mul_f32_e64 v7, -v67, s6                                 // 00000000A538: D1050007 20000D43
	v_exp_f32_e32 v4, v4                                       // 00000000A540: 7E084104
	v_exp_f32_e32 v5, v5                                       // 00000000A544: 7E0A4105
	v_exp_f32_e32 v6, v6                                       // 00000000A548: 7E0C4106
	v_exp_f32_e32 v7, v7                                       // 00000000A54C: 7E0E4107
	v_add_f32_e64 v4, v4, 1.0                                  // 00000000A550: D1010004 0001E504
	v_add_f32_e64 v5, v5, 1.0                                  // 00000000A558: D1010005 0001E505
	v_add_f32_e64 v6, v6, 1.0                                  // 00000000A560: D1010006 0001E506
	v_add_f32_e64 v7, v7, 1.0                                  // 00000000A568: D1010007 0001E507
	v_rcp_f32_e32 v4, v4                                       // 00000000A570: 7E084504
	v_rcp_f32_e32 v5, v5                                       // 00000000A574: 7E0A4505
	v_rcp_f32_e32 v6, v6                                       // 00000000A578: 7E0C4506
	v_rcp_f32_e32 v7, v7                                       // 00000000A57C: 7E0E4507
	v_mul_f32_e32 v64, v64, v4                                 // 00000000A580: 0A800940
	v_mul_f32_e32 v65, v65, v5                                 // 00000000A584: 0A820B41
	v_mul_f32_e32 v66, v66, v6                                 // 00000000A588: 0A840D42
	v_mul_f32_e32 v67, v67, v7                                 // 00000000A58C: 0A860F43
	v_mul_f32_e32 v64, v64, v112                               // 00000000A590: 0A80E140
	v_mul_f32_e32 v65, v65, v113                               // 00000000A594: 0A82E341
	v_mul_f32_e32 v66, v66, v114                               // 00000000A598: 0A84E542
	v_mul_f32_e32 v67, v67, v115                               // 00000000A59C: 0A86E743
	v_mul_f32_e64 v4, -v68, s6                                 // 00000000A5A0: D1050004 20000D44
	v_mul_f32_e64 v5, -v69, s6                                 // 00000000A5A8: D1050005 20000D45
	v_mul_f32_e64 v6, -v70, s6                                 // 00000000A5B0: D1050006 20000D46
	v_mul_f32_e64 v7, -v71, s6                                 // 00000000A5B8: D1050007 20000D47
	v_exp_f32_e32 v4, v4                                       // 00000000A5C0: 7E084104
	v_exp_f32_e32 v5, v5                                       // 00000000A5C4: 7E0A4105
	v_exp_f32_e32 v6, v6                                       // 00000000A5C8: 7E0C4106
	v_exp_f32_e32 v7, v7                                       // 00000000A5CC: 7E0E4107
	v_add_f32_e64 v4, v4, 1.0                                  // 00000000A5D0: D1010004 0001E504
	v_add_f32_e64 v5, v5, 1.0                                  // 00000000A5D8: D1010005 0001E505
	v_add_f32_e64 v6, v6, 1.0                                  // 00000000A5E0: D1010006 0001E506
	v_add_f32_e64 v7, v7, 1.0                                  // 00000000A5E8: D1010007 0001E507
	v_rcp_f32_e32 v4, v4                                       // 00000000A5F0: 7E084504
	v_rcp_f32_e32 v5, v5                                       // 00000000A5F4: 7E0A4505
	v_rcp_f32_e32 v6, v6                                       // 00000000A5F8: 7E0C4506
	v_rcp_f32_e32 v7, v7                                       // 00000000A5FC: 7E0E4507
	v_mul_f32_e32 v68, v68, v4                                 // 00000000A600: 0A880944
	v_mul_f32_e32 v69, v69, v5                                 // 00000000A604: 0A8A0B45
	v_mul_f32_e32 v70, v70, v6                                 // 00000000A608: 0A8C0D46
	v_mul_f32_e32 v71, v71, v7                                 // 00000000A60C: 0A8E0F47
	v_mul_f32_e32 v68, v68, v116                               // 00000000A610: 0A88E944
	v_mul_f32_e32 v69, v69, v117                               // 00000000A614: 0A8AEB45
	v_mul_f32_e32 v70, v70, v118                               // 00000000A618: 0A8CED46
	v_mul_f32_e32 v71, v71, v119                               // 00000000A61C: 0A8EEF47
	v_mul_f32_e64 v4, -v72, s6                                 // 00000000A620: D1050004 20000D48
	v_mul_f32_e64 v5, -v73, s6                                 // 00000000A628: D1050005 20000D49
	v_mul_f32_e64 v6, -v74, s6                                 // 00000000A630: D1050006 20000D4A
	v_mul_f32_e64 v7, -v75, s6                                 // 00000000A638: D1050007 20000D4B
	v_exp_f32_e32 v4, v4                                       // 00000000A640: 7E084104
	v_exp_f32_e32 v5, v5                                       // 00000000A644: 7E0A4105
	v_exp_f32_e32 v6, v6                                       // 00000000A648: 7E0C4106
	v_exp_f32_e32 v7, v7                                       // 00000000A64C: 7E0E4107
	v_add_f32_e64 v4, v4, 1.0                                  // 00000000A650: D1010004 0001E504
	v_add_f32_e64 v5, v5, 1.0                                  // 00000000A658: D1010005 0001E505
	v_add_f32_e64 v6, v6, 1.0                                  // 00000000A660: D1010006 0001E506
	v_add_f32_e64 v7, v7, 1.0                                  // 00000000A668: D1010007 0001E507
	v_rcp_f32_e32 v4, v4                                       // 00000000A670: 7E084504
	v_rcp_f32_e32 v5, v5                                       // 00000000A674: 7E0A4505
	v_rcp_f32_e32 v6, v6                                       // 00000000A678: 7E0C4506
	v_rcp_f32_e32 v7, v7                                       // 00000000A67C: 7E0E4507
	v_mul_f32_e32 v72, v72, v4                                 // 00000000A680: 0A900948
	v_mul_f32_e32 v73, v73, v5                                 // 00000000A684: 0A920B49
	v_mul_f32_e32 v74, v74, v6                                 // 00000000A688: 0A940D4A
	v_mul_f32_e32 v75, v75, v7                                 // 00000000A68C: 0A960F4B
	v_mul_f32_e32 v72, v72, v120                               // 00000000A690: 0A90F148
	v_mul_f32_e32 v73, v73, v121                               // 00000000A694: 0A92F349
	v_mul_f32_e32 v74, v74, v122                               // 00000000A698: 0A94F54A
	v_mul_f32_e32 v75, v75, v123                               // 00000000A69C: 0A96F74B
	v_mul_f32_e64 v4, -v76, s6                                 // 00000000A6A0: D1050004 20000D4C
	v_mul_f32_e64 v5, -v77, s6                                 // 00000000A6A8: D1050005 20000D4D
	v_mul_f32_e64 v6, -v78, s6                                 // 00000000A6B0: D1050006 20000D4E
	v_mul_f32_e64 v7, -v79, s6                                 // 00000000A6B8: D1050007 20000D4F
	v_exp_f32_e32 v4, v4                                       // 00000000A6C0: 7E084104
	v_exp_f32_e32 v5, v5                                       // 00000000A6C4: 7E0A4105
	v_exp_f32_e32 v6, v6                                       // 00000000A6C8: 7E0C4106
	v_exp_f32_e32 v7, v7                                       // 00000000A6CC: 7E0E4107
	v_add_f32_e64 v4, v4, 1.0                                  // 00000000A6D0: D1010004 0001E504
	v_add_f32_e64 v5, v5, 1.0                                  // 00000000A6D8: D1010005 0001E505
	v_add_f32_e64 v6, v6, 1.0                                  // 00000000A6E0: D1010006 0001E506
	v_add_f32_e64 v7, v7, 1.0                                  // 00000000A6E8: D1010007 0001E507
	v_rcp_f32_e32 v4, v4                                       // 00000000A6F0: 7E084504
	v_rcp_f32_e32 v5, v5                                       // 00000000A6F4: 7E0A4505
	v_rcp_f32_e32 v6, v6                                       // 00000000A6F8: 7E0C4506
	v_rcp_f32_e32 v7, v7                                       // 00000000A6FC: 7E0E4507
	v_mul_f32_e32 v76, v76, v4                                 // 00000000A700: 0A98094C
	v_mul_f32_e32 v77, v77, v5                                 // 00000000A704: 0A9A0B4D
	v_mul_f32_e32 v78, v78, v6                                 // 00000000A708: 0A9C0D4E
	v_mul_f32_e32 v79, v79, v7                                 // 00000000A70C: 0A9E0F4F
	v_mul_f32_e32 v76, v76, v124                               // 00000000A710: 0A98F94C
	v_mul_f32_e32 v77, v77, v125                               // 00000000A714: 0A9AFB4D
	v_mul_f32_e32 v78, v78, v126                               // 00000000A718: 0A9CFD4E
	v_mul_f32_e32 v79, v79, v127                               // 00000000A71C: 0A9EFF4F
	v_mul_f32_e64 v4, -v80, s6                                 // 00000000A720: D1050004 20000D50
	v_mul_f32_e64 v5, -v81, s6                                 // 00000000A728: D1050005 20000D51
	v_mul_f32_e64 v6, -v82, s6                                 // 00000000A730: D1050006 20000D52
	v_mul_f32_e64 v7, -v83, s6                                 // 00000000A738: D1050007 20000D53
	v_exp_f32_e32 v4, v4                                       // 00000000A740: 7E084104
	v_exp_f32_e32 v5, v5                                       // 00000000A744: 7E0A4105
	v_exp_f32_e32 v6, v6                                       // 00000000A748: 7E0C4106
	v_exp_f32_e32 v7, v7                                       // 00000000A74C: 7E0E4107
	v_add_f32_e64 v4, v4, 1.0                                  // 00000000A750: D1010004 0001E504
	v_add_f32_e64 v5, v5, 1.0                                  // 00000000A758: D1010005 0001E505
	v_add_f32_e64 v6, v6, 1.0                                  // 00000000A760: D1010006 0001E506
	v_add_f32_e64 v7, v7, 1.0                                  // 00000000A768: D1010007 0001E507
	v_rcp_f32_e32 v4, v4                                       // 00000000A770: 7E084504
	v_rcp_f32_e32 v5, v5                                       // 00000000A774: 7E0A4505
	v_rcp_f32_e32 v6, v6                                       // 00000000A778: 7E0C4506
	v_rcp_f32_e32 v7, v7                                       // 00000000A77C: 7E0E4507
	v_mul_f32_e32 v80, v80, v4                                 // 00000000A780: 0AA00950
	v_mul_f32_e32 v81, v81, v5                                 // 00000000A784: 0AA20B51
	v_mul_f32_e32 v82, v82, v6                                 // 00000000A788: 0AA40D52
	v_mul_f32_e32 v83, v83, v7                                 // 00000000A78C: 0AA60F53
	v_mul_f32_e32 v80, v80, v128                               // 00000000A790: 0AA10150
	v_mul_f32_e32 v81, v81, v129                               // 00000000A794: 0AA30351
	v_mul_f32_e32 v82, v82, v130                               // 00000000A798: 0AA50552
	v_mul_f32_e32 v83, v83, v131                               // 00000000A79C: 0AA70753
	v_mul_f32_e64 v4, -v84, s6                                 // 00000000A7A0: D1050004 20000D54
	v_mul_f32_e64 v5, -v85, s6                                 // 00000000A7A8: D1050005 20000D55
	v_mul_f32_e64 v6, -v86, s6                                 // 00000000A7B0: D1050006 20000D56
	v_mul_f32_e64 v7, -v87, s6                                 // 00000000A7B8: D1050007 20000D57
	v_exp_f32_e32 v4, v4                                       // 00000000A7C0: 7E084104
	v_exp_f32_e32 v5, v5                                       // 00000000A7C4: 7E0A4105
	v_exp_f32_e32 v6, v6                                       // 00000000A7C8: 7E0C4106
	v_exp_f32_e32 v7, v7                                       // 00000000A7CC: 7E0E4107
	v_add_f32_e64 v4, v4, 1.0                                  // 00000000A7D0: D1010004 0001E504
	v_add_f32_e64 v5, v5, 1.0                                  // 00000000A7D8: D1010005 0001E505
	v_add_f32_e64 v6, v6, 1.0                                  // 00000000A7E0: D1010006 0001E506
	v_add_f32_e64 v7, v7, 1.0                                  // 00000000A7E8: D1010007 0001E507
	v_rcp_f32_e32 v4, v4                                       // 00000000A7F0: 7E084504
	v_rcp_f32_e32 v5, v5                                       // 00000000A7F4: 7E0A4505
	v_rcp_f32_e32 v6, v6                                       // 00000000A7F8: 7E0C4506
	v_rcp_f32_e32 v7, v7                                       // 00000000A7FC: 7E0E4507
	v_mul_f32_e32 v84, v84, v4                                 // 00000000A800: 0AA80954
	v_mul_f32_e32 v85, v85, v5                                 // 00000000A804: 0AAA0B55
	v_mul_f32_e32 v86, v86, v6                                 // 00000000A808: 0AAC0D56
	v_mul_f32_e32 v87, v87, v7                                 // 00000000A80C: 0AAE0F57
	v_mul_f32_e32 v84, v84, v132                               // 00000000A810: 0AA90954
	v_mul_f32_e32 v85, v85, v133                               // 00000000A814: 0AAB0B55
	v_mul_f32_e32 v86, v86, v134                               // 00000000A818: 0AAD0D56
	v_mul_f32_e32 v87, v87, v135                               // 00000000A81C: 0AAF0F57
	v_mul_f32_e64 v4, -v88, s6                                 // 00000000A820: D1050004 20000D58
	v_mul_f32_e64 v5, -v89, s6                                 // 00000000A828: D1050005 20000D59
	v_mul_f32_e64 v6, -v90, s6                                 // 00000000A830: D1050006 20000D5A
	v_mul_f32_e64 v7, -v91, s6                                 // 00000000A838: D1050007 20000D5B
	v_exp_f32_e32 v4, v4                                       // 00000000A840: 7E084104
	v_exp_f32_e32 v5, v5                                       // 00000000A844: 7E0A4105
	v_exp_f32_e32 v6, v6                                       // 00000000A848: 7E0C4106
	v_exp_f32_e32 v7, v7                                       // 00000000A84C: 7E0E4107
	v_add_f32_e64 v4, v4, 1.0                                  // 00000000A850: D1010004 0001E504
	v_add_f32_e64 v5, v5, 1.0                                  // 00000000A858: D1010005 0001E505
	v_add_f32_e64 v6, v6, 1.0                                  // 00000000A860: D1010006 0001E506
	v_add_f32_e64 v7, v7, 1.0                                  // 00000000A868: D1010007 0001E507
	v_rcp_f32_e32 v4, v4                                       // 00000000A870: 7E084504
	v_rcp_f32_e32 v5, v5                                       // 00000000A874: 7E0A4505
	v_rcp_f32_e32 v6, v6                                       // 00000000A878: 7E0C4506
	v_rcp_f32_e32 v7, v7                                       // 00000000A87C: 7E0E4507
	v_mul_f32_e32 v88, v88, v4                                 // 00000000A880: 0AB00958
	v_mul_f32_e32 v89, v89, v5                                 // 00000000A884: 0AB20B59
	v_mul_f32_e32 v90, v90, v6                                 // 00000000A888: 0AB40D5A
	v_mul_f32_e32 v91, v91, v7                                 // 00000000A88C: 0AB60F5B
	v_mul_f32_e32 v88, v88, v136                               // 00000000A890: 0AB11158
	v_mul_f32_e32 v89, v89, v137                               // 00000000A894: 0AB31359
	v_mul_f32_e32 v90, v90, v138                               // 00000000A898: 0AB5155A
	v_mul_f32_e32 v91, v91, v139                               // 00000000A89C: 0AB7175B
	v_mul_f32_e64 v4, -v92, s6                                 // 00000000A8A0: D1050004 20000D5C
	v_mul_f32_e64 v5, -v93, s6                                 // 00000000A8A8: D1050005 20000D5D
	v_mul_f32_e64 v6, -v94, s6                                 // 00000000A8B0: D1050006 20000D5E
	v_mul_f32_e64 v7, -v95, s6                                 // 00000000A8B8: D1050007 20000D5F
	v_exp_f32_e32 v4, v4                                       // 00000000A8C0: 7E084104
	v_exp_f32_e32 v5, v5                                       // 00000000A8C4: 7E0A4105
	v_exp_f32_e32 v6, v6                                       // 00000000A8C8: 7E0C4106
	v_exp_f32_e32 v7, v7                                       // 00000000A8CC: 7E0E4107
	v_add_f32_e64 v4, v4, 1.0                                  // 00000000A8D0: D1010004 0001E504
	v_add_f32_e64 v5, v5, 1.0                                  // 00000000A8D8: D1010005 0001E505
	v_add_f32_e64 v6, v6, 1.0                                  // 00000000A8E0: D1010006 0001E506
	v_add_f32_e64 v7, v7, 1.0                                  // 00000000A8E8: D1010007 0001E507
	v_rcp_f32_e32 v4, v4                                       // 00000000A8F0: 7E084504
	v_rcp_f32_e32 v5, v5                                       // 00000000A8F4: 7E0A4505
	v_rcp_f32_e32 v6, v6                                       // 00000000A8F8: 7E0C4506
	v_rcp_f32_e32 v7, v7                                       // 00000000A8FC: 7E0E4507
	v_mul_f32_e32 v92, v92, v4                                 // 00000000A900: 0AB8095C
	v_mul_f32_e32 v93, v93, v5                                 // 00000000A904: 0ABA0B5D
	v_mul_f32_e32 v94, v94, v6                                 // 00000000A908: 0ABC0D5E
	v_mul_f32_e32 v95, v95, v7                                 // 00000000A90C: 0ABE0F5F
	v_mul_f32_e32 v92, v92, v140                               // 00000000A910: 0AB9195C
	v_mul_f32_e32 v93, v93, v141                               // 00000000A914: 0ABB1B5D
	v_mul_f32_e32 v94, v94, v142                               // 00000000A918: 0ABD1D5E
	v_mul_f32_e32 v95, v95, v143                               // 00000000A91C: 0ABF1F5F
	v_mul_f32_e64 v4, -v96, s6                                 // 00000000A920: D1050004 20000D60
	v_mul_f32_e64 v5, -v97, s6                                 // 00000000A928: D1050005 20000D61
	v_mul_f32_e64 v6, -v98, s6                                 // 00000000A930: D1050006 20000D62
	v_mul_f32_e64 v7, -v99, s6                                 // 00000000A938: D1050007 20000D63
	v_exp_f32_e32 v4, v4                                       // 00000000A940: 7E084104
	v_exp_f32_e32 v5, v5                                       // 00000000A944: 7E0A4105
	v_exp_f32_e32 v6, v6                                       // 00000000A948: 7E0C4106
	v_exp_f32_e32 v7, v7                                       // 00000000A94C: 7E0E4107
	v_add_f32_e64 v4, v4, 1.0                                  // 00000000A950: D1010004 0001E504
	v_add_f32_e64 v5, v5, 1.0                                  // 00000000A958: D1010005 0001E505
	v_add_f32_e64 v6, v6, 1.0                                  // 00000000A960: D1010006 0001E506
	v_add_f32_e64 v7, v7, 1.0                                  // 00000000A968: D1010007 0001E507
	v_rcp_f32_e32 v4, v4                                       // 00000000A970: 7E084504
	v_rcp_f32_e32 v5, v5                                       // 00000000A974: 7E0A4505
	v_rcp_f32_e32 v6, v6                                       // 00000000A978: 7E0C4506
	v_rcp_f32_e32 v7, v7                                       // 00000000A97C: 7E0E4507
	v_mul_f32_e32 v96, v96, v4                                 // 00000000A980: 0AC00960
	v_mul_f32_e32 v97, v97, v5                                 // 00000000A984: 0AC20B61
	v_mul_f32_e32 v98, v98, v6                                 // 00000000A988: 0AC40D62
	v_mul_f32_e32 v99, v99, v7                                 // 00000000A98C: 0AC60F63
	v_mul_f32_e32 v96, v96, v144                               // 00000000A990: 0AC12160
	v_mul_f32_e32 v97, v97, v145                               // 00000000A994: 0AC32361
	v_mul_f32_e32 v98, v98, v146                               // 00000000A998: 0AC52562
	v_mul_f32_e32 v99, v99, v147                               // 00000000A99C: 0AC72763

000000000000a9a0 <label_1F6B>:
	v_cmp_u_f32_e64 s[46:47], v52, v52                         // 00000000A9A0: D048002E 00026934
	v_add3_u32 v16, v52, v19, 1                                // 00000000A9A8: D1FF0010 02062734
	v_cndmask_b32_e64 v4, v16, v18, s[46:47]                   // 00000000A9B0: D1000004 00BA2510
	v_cmp_u_f32_e64 s[46:47], v53, v53                         // 00000000A9B8: D048002E 00026B35
	v_add3_u32 v16, v53, v19, 1                                // 00000000A9C0: D1FF0010 02062735
	v_cndmask_b32_e64 v5, v16, v18, s[46:47]                   // 00000000A9C8: D1000005 00BA2510
	v_perm_b32 v52, v5, v4, s52                                // 00000000A9D0: D1ED0034 00D20905
	v_cmp_u_f32_e64 s[46:47], v54, v54                         // 00000000A9D8: D048002E 00026D36
	v_add3_u32 v16, v54, v19, 1                                // 00000000A9E0: D1FF0010 02062736
	v_cndmask_b32_e64 v4, v16, v18, s[46:47]                   // 00000000A9E8: D1000004 00BA2510
	v_cmp_u_f32_e64 s[46:47], v55, v55                         // 00000000A9F0: D048002E 00026F37
	v_add3_u32 v16, v55, v19, 1                                // 00000000A9F8: D1FF0010 02062737
	v_cndmask_b32_e64 v5, v16, v18, s[46:47]                   // 00000000AA00: D1000005 00BA2510
	v_perm_b32 v53, v5, v4, s52                                // 00000000AA08: D1ED0035 00D20905
	v_cmp_u_f32_e64 s[46:47], v56, v56                         // 00000000AA10: D048002E 00027138
	v_add3_u32 v16, v56, v19, 1                                // 00000000AA18: D1FF0010 02062738
	v_cndmask_b32_e64 v4, v16, v18, s[46:47]                   // 00000000AA20: D1000004 00BA2510
	v_cmp_u_f32_e64 s[46:47], v57, v57                         // 00000000AA28: D048002E 00027339
	v_add3_u32 v16, v57, v19, 1                                // 00000000AA30: D1FF0010 02062739
	v_cndmask_b32_e64 v5, v16, v18, s[46:47]                   // 00000000AA38: D1000005 00BA2510
	v_perm_b32 v54, v5, v4, s52                                // 00000000AA40: D1ED0036 00D20905
	v_cmp_u_f32_e64 s[46:47], v58, v58                         // 00000000AA48: D048002E 0002753A
	v_add3_u32 v16, v58, v19, 1                                // 00000000AA50: D1FF0010 0206273A
	v_cndmask_b32_e64 v4, v16, v18, s[46:47]                   // 00000000AA58: D1000004 00BA2510
	v_cmp_u_f32_e64 s[46:47], v59, v59                         // 00000000AA60: D048002E 0002773B
	v_add3_u32 v16, v59, v19, 1                                // 00000000AA68: D1FF0010 0206273B
	v_cndmask_b32_e64 v5, v16, v18, s[46:47]                   // 00000000AA70: D1000005 00BA2510
	v_perm_b32 v55, v5, v4, s52                                // 00000000AA78: D1ED0037 00D20905
	v_cmp_u_f32_e64 s[46:47], v60, v60                         // 00000000AA80: D048002E 0002793C
	v_add3_u32 v16, v60, v19, 1                                // 00000000AA88: D1FF0010 0206273C
	v_cndmask_b32_e64 v4, v16, v18, s[46:47]                   // 00000000AA90: D1000004 00BA2510
	v_cmp_u_f32_e64 s[46:47], v61, v61                         // 00000000AA98: D048002E 00027B3D
	v_add3_u32 v16, v61, v19, 1                                // 00000000AAA0: D1FF0010 0206273D
	v_cndmask_b32_e64 v5, v16, v18, s[46:47]                   // 00000000AAA8: D1000005 00BA2510
	v_perm_b32 v56, v5, v4, s52                                // 00000000AAB0: D1ED0038 00D20905
	v_cmp_u_f32_e64 s[46:47], v62, v62                         // 00000000AAB8: D048002E 00027D3E
	v_add3_u32 v16, v62, v19, 1                                // 00000000AAC0: D1FF0010 0206273E
	v_cndmask_b32_e64 v4, v16, v18, s[46:47]                   // 00000000AAC8: D1000004 00BA2510
	v_cmp_u_f32_e64 s[46:47], v63, v63                         // 00000000AAD0: D048002E 00027F3F
	v_add3_u32 v16, v63, v19, 1                                // 00000000AAD8: D1FF0010 0206273F
	v_cndmask_b32_e64 v5, v16, v18, s[46:47]                   // 00000000AAE0: D1000005 00BA2510
	v_perm_b32 v57, v5, v4, s52                                // 00000000AAE8: D1ED0039 00D20905
	v_cmp_u_f32_e64 s[46:47], v64, v64                         // 00000000AAF0: D048002E 00028140
	v_add3_u32 v16, v64, v19, 1                                // 00000000AAF8: D1FF0010 02062740
	v_cndmask_b32_e64 v4, v16, v18, s[46:47]                   // 00000000AB00: D1000004 00BA2510
	v_cmp_u_f32_e64 s[46:47], v65, v65                         // 00000000AB08: D048002E 00028341
	v_add3_u32 v16, v65, v19, 1                                // 00000000AB10: D1FF0010 02062741
	v_cndmask_b32_e64 v5, v16, v18, s[46:47]                   // 00000000AB18: D1000005 00BA2510
	v_perm_b32 v58, v5, v4, s52                                // 00000000AB20: D1ED003A 00D20905
	v_cmp_u_f32_e64 s[46:47], v66, v66                         // 00000000AB28: D048002E 00028542
	v_add3_u32 v16, v66, v19, 1                                // 00000000AB30: D1FF0010 02062742
	v_cndmask_b32_e64 v4, v16, v18, s[46:47]                   // 00000000AB38: D1000004 00BA2510
	v_cmp_u_f32_e64 s[46:47], v67, v67                         // 00000000AB40: D048002E 00028743
	v_add3_u32 v16, v67, v19, 1                                // 00000000AB48: D1FF0010 02062743
	v_cndmask_b32_e64 v5, v16, v18, s[46:47]                   // 00000000AB50: D1000005 00BA2510
	v_perm_b32 v59, v5, v4, s52                                // 00000000AB58: D1ED003B 00D20905
	v_cmp_u_f32_e64 s[46:47], v68, v68                         // 00000000AB60: D048002E 00028944
	v_add3_u32 v16, v68, v19, 1                                // 00000000AB68: D1FF0010 02062744
	v_cndmask_b32_e64 v4, v16, v18, s[46:47]                   // 00000000AB70: D1000004 00BA2510
	v_cmp_u_f32_e64 s[46:47], v69, v69                         // 00000000AB78: D048002E 00028B45
	v_add3_u32 v16, v69, v19, 1                                // 00000000AB80: D1FF0010 02062745
	v_cndmask_b32_e64 v5, v16, v18, s[46:47]                   // 00000000AB88: D1000005 00BA2510
	v_perm_b32 v60, v5, v4, s52                                // 00000000AB90: D1ED003C 00D20905
	v_cmp_u_f32_e64 s[46:47], v70, v70                         // 00000000AB98: D048002E 00028D46
	v_add3_u32 v16, v70, v19, 1                                // 00000000ABA0: D1FF0010 02062746
	v_cndmask_b32_e64 v4, v16, v18, s[46:47]                   // 00000000ABA8: D1000004 00BA2510
	v_cmp_u_f32_e64 s[46:47], v71, v71                         // 00000000ABB0: D048002E 00028F47
	v_add3_u32 v16, v71, v19, 1                                // 00000000ABB8: D1FF0010 02062747
	v_cndmask_b32_e64 v5, v16, v18, s[46:47]                   // 00000000ABC0: D1000005 00BA2510
	v_perm_b32 v61, v5, v4, s52                                // 00000000ABC8: D1ED003D 00D20905
	v_cmp_u_f32_e64 s[46:47], v72, v72                         // 00000000ABD0: D048002E 00029148
	v_add3_u32 v16, v72, v19, 1                                // 00000000ABD8: D1FF0010 02062748
	v_cndmask_b32_e64 v4, v16, v18, s[46:47]                   // 00000000ABE0: D1000004 00BA2510
	v_cmp_u_f32_e64 s[46:47], v73, v73                         // 00000000ABE8: D048002E 00029349
	v_add3_u32 v16, v73, v19, 1                                // 00000000ABF0: D1FF0010 02062749
	v_cndmask_b32_e64 v5, v16, v18, s[46:47]                   // 00000000ABF8: D1000005 00BA2510
	v_perm_b32 v62, v5, v4, s52                                // 00000000AC00: D1ED003E 00D20905
	v_cmp_u_f32_e64 s[46:47], v74, v74                         // 00000000AC08: D048002E 0002954A
	v_add3_u32 v16, v74, v19, 1                                // 00000000AC10: D1FF0010 0206274A
	v_cndmask_b32_e64 v4, v16, v18, s[46:47]                   // 00000000AC18: D1000004 00BA2510
	v_cmp_u_f32_e64 s[46:47], v75, v75                         // 00000000AC20: D048002E 0002974B
	v_add3_u32 v16, v75, v19, 1                                // 00000000AC28: D1FF0010 0206274B
	v_cndmask_b32_e64 v5, v16, v18, s[46:47]                   // 00000000AC30: D1000005 00BA2510
	v_perm_b32 v63, v5, v4, s52                                // 00000000AC38: D1ED003F 00D20905
	v_cmp_u_f32_e64 s[46:47], v76, v76                         // 00000000AC40: D048002E 0002994C
	v_add3_u32 v16, v76, v19, 1                                // 00000000AC48: D1FF0010 0206274C
	v_cndmask_b32_e64 v4, v16, v18, s[46:47]                   // 00000000AC50: D1000004 00BA2510
	v_cmp_u_f32_e64 s[46:47], v77, v77                         // 00000000AC58: D048002E 00029B4D
	v_add3_u32 v16, v77, v19, 1                                // 00000000AC60: D1FF0010 0206274D
	v_cndmask_b32_e64 v5, v16, v18, s[46:47]                   // 00000000AC68: D1000005 00BA2510
	v_perm_b32 v64, v5, v4, s52                                // 00000000AC70: D1ED0040 00D20905
	v_cmp_u_f32_e64 s[46:47], v78, v78                         // 00000000AC78: D048002E 00029D4E
	v_add3_u32 v16, v78, v19, 1                                // 00000000AC80: D1FF0010 0206274E
	v_cndmask_b32_e64 v4, v16, v18, s[46:47]                   // 00000000AC88: D1000004 00BA2510
	v_cmp_u_f32_e64 s[46:47], v79, v79                         // 00000000AC90: D048002E 00029F4F
	v_add3_u32 v16, v79, v19, 1                                // 00000000AC98: D1FF0010 0206274F
	v_cndmask_b32_e64 v5, v16, v18, s[46:47]                   // 00000000ACA0: D1000005 00BA2510
	v_perm_b32 v65, v5, v4, s52                                // 00000000ACA8: D1ED0041 00D20905
	v_cmp_u_f32_e64 s[46:47], v80, v80                         // 00000000ACB0: D048002E 0002A150
	v_add3_u32 v16, v80, v19, 1                                // 00000000ACB8: D1FF0010 02062750
	v_cndmask_b32_e64 v4, v16, v18, s[46:47]                   // 00000000ACC0: D1000004 00BA2510
	v_cmp_u_f32_e64 s[46:47], v81, v81                         // 00000000ACC8: D048002E 0002A351
	v_add3_u32 v16, v81, v19, 1                                // 00000000ACD0: D1FF0010 02062751
	v_cndmask_b32_e64 v5, v16, v18, s[46:47]                   // 00000000ACD8: D1000005 00BA2510
	v_perm_b32 v66, v5, v4, s52                                // 00000000ACE0: D1ED0042 00D20905
	v_cmp_u_f32_e64 s[46:47], v82, v82                         // 00000000ACE8: D048002E 0002A552
	v_add3_u32 v16, v82, v19, 1                                // 00000000ACF0: D1FF0010 02062752
	v_cndmask_b32_e64 v4, v16, v18, s[46:47]                   // 00000000ACF8: D1000004 00BA2510
	v_cmp_u_f32_e64 s[46:47], v83, v83                         // 00000000AD00: D048002E 0002A753
	v_add3_u32 v16, v83, v19, 1                                // 00000000AD08: D1FF0010 02062753
	v_cndmask_b32_e64 v5, v16, v18, s[46:47]                   // 00000000AD10: D1000005 00BA2510
	v_perm_b32 v67, v5, v4, s52                                // 00000000AD18: D1ED0043 00D20905
	v_cmp_u_f32_e64 s[46:47], v84, v84                         // 00000000AD20: D048002E 0002A954
	v_add3_u32 v16, v84, v19, 1                                // 00000000AD28: D1FF0010 02062754
	v_cndmask_b32_e64 v4, v16, v18, s[46:47]                   // 00000000AD30: D1000004 00BA2510
	v_cmp_u_f32_e64 s[46:47], v85, v85                         // 00000000AD38: D048002E 0002AB55
	v_add3_u32 v16, v85, v19, 1                                // 00000000AD40: D1FF0010 02062755
	v_cndmask_b32_e64 v5, v16, v18, s[46:47]                   // 00000000AD48: D1000005 00BA2510
	v_perm_b32 v68, v5, v4, s52                                // 00000000AD50: D1ED0044 00D20905
	v_cmp_u_f32_e64 s[46:47], v86, v86                         // 00000000AD58: D048002E 0002AD56
	v_add3_u32 v16, v86, v19, 1                                // 00000000AD60: D1FF0010 02062756
	v_cndmask_b32_e64 v4, v16, v18, s[46:47]                   // 00000000AD68: D1000004 00BA2510
	v_cmp_u_f32_e64 s[46:47], v87, v87                         // 00000000AD70: D048002E 0002AF57
	v_add3_u32 v16, v87, v19, 1                                // 00000000AD78: D1FF0010 02062757
	v_cndmask_b32_e64 v5, v16, v18, s[46:47]                   // 00000000AD80: D1000005 00BA2510
	v_perm_b32 v69, v5, v4, s52                                // 00000000AD88: D1ED0045 00D20905
	v_cmp_u_f32_e64 s[46:47], v88, v88                         // 00000000AD90: D048002E 0002B158
	v_add3_u32 v16, v88, v19, 1                                // 00000000AD98: D1FF0010 02062758
	v_cndmask_b32_e64 v4, v16, v18, s[46:47]                   // 00000000ADA0: D1000004 00BA2510
	v_cmp_u_f32_e64 s[46:47], v89, v89                         // 00000000ADA8: D048002E 0002B359
	v_add3_u32 v16, v89, v19, 1                                // 00000000ADB0: D1FF0010 02062759
	v_cndmask_b32_e64 v5, v16, v18, s[46:47]                   // 00000000ADB8: D1000005 00BA2510
	v_perm_b32 v70, v5, v4, s52                                // 00000000ADC0: D1ED0046 00D20905
	v_cmp_u_f32_e64 s[46:47], v90, v90                         // 00000000ADC8: D048002E 0002B55A
	v_add3_u32 v16, v90, v19, 1                                // 00000000ADD0: D1FF0010 0206275A
	v_cndmask_b32_e64 v4, v16, v18, s[46:47]                   // 00000000ADD8: D1000004 00BA2510
	v_cmp_u_f32_e64 s[46:47], v91, v91                         // 00000000ADE0: D048002E 0002B75B
	v_add3_u32 v16, v91, v19, 1                                // 00000000ADE8: D1FF0010 0206275B
	v_cndmask_b32_e64 v5, v16, v18, s[46:47]                   // 00000000ADF0: D1000005 00BA2510
	v_perm_b32 v71, v5, v4, s52                                // 00000000ADF8: D1ED0047 00D20905
	v_cmp_u_f32_e64 s[46:47], v92, v92                         // 00000000AE00: D048002E 0002B95C
	v_add3_u32 v16, v92, v19, 1                                // 00000000AE08: D1FF0010 0206275C
	v_cndmask_b32_e64 v4, v16, v18, s[46:47]                   // 00000000AE10: D1000004 00BA2510
	v_cmp_u_f32_e64 s[46:47], v93, v93                         // 00000000AE18: D048002E 0002BB5D
	v_add3_u32 v16, v93, v19, 1                                // 00000000AE20: D1FF0010 0206275D
	v_cndmask_b32_e64 v5, v16, v18, s[46:47]                   // 00000000AE28: D1000005 00BA2510
	v_perm_b32 v72, v5, v4, s52                                // 00000000AE30: D1ED0048 00D20905
	v_cmp_u_f32_e64 s[46:47], v94, v94                         // 00000000AE38: D048002E 0002BD5E
	v_add3_u32 v16, v94, v19, 1                                // 00000000AE40: D1FF0010 0206275E
	v_cndmask_b32_e64 v4, v16, v18, s[46:47]                   // 00000000AE48: D1000004 00BA2510
	v_cmp_u_f32_e64 s[46:47], v95, v95                         // 00000000AE50: D048002E 0002BF5F
	v_add3_u32 v16, v95, v19, 1                                // 00000000AE58: D1FF0010 0206275F
	v_cndmask_b32_e64 v5, v16, v18, s[46:47]                   // 00000000AE60: D1000005 00BA2510
	v_perm_b32 v73, v5, v4, s52                                // 00000000AE68: D1ED0049 00D20905
	v_cmp_u_f32_e64 s[46:47], v96, v96                         // 00000000AE70: D048002E 0002C160
	v_add3_u32 v16, v96, v19, 1                                // 00000000AE78: D1FF0010 02062760
	v_cndmask_b32_e64 v4, v16, v18, s[46:47]                   // 00000000AE80: D1000004 00BA2510
	v_cmp_u_f32_e64 s[46:47], v97, v97                         // 00000000AE88: D048002E 0002C361
	v_add3_u32 v16, v97, v19, 1                                // 00000000AE90: D1FF0010 02062761
	v_cndmask_b32_e64 v5, v16, v18, s[46:47]                   // 00000000AE98: D1000005 00BA2510
	v_perm_b32 v74, v5, v4, s52                                // 00000000AEA0: D1ED004A 00D20905
	v_cmp_u_f32_e64 s[46:47], v98, v98                         // 00000000AEA8: D048002E 0002C562
	v_add3_u32 v16, v98, v19, 1                                // 00000000AEB0: D1FF0010 02062762
	v_cndmask_b32_e64 v4, v16, v18, s[46:47]                   // 00000000AEB8: D1000004 00BA2510
	v_cmp_u_f32_e64 s[46:47], v99, v99                         // 00000000AEC0: D048002E 0002C763
	v_add3_u32 v16, v99, v19, 1                                // 00000000AEC8: D1FF0010 02062763
	v_cndmask_b32_e64 v5, v16, v18, s[46:47]                   // 00000000AED0: D1000005 00BA2510
	v_perm_b32 v75, v5, v4, s52                                // 00000000AED8: D1ED004B 00D20905
	ds_write_b64 v20, v[52:53]                                 // 00000000AEE0: D89A0000 00003414
	ds_write_b64 v20, v[54:55] offset:13056                    // 00000000AEE8: D89A3300 00003614
	ds_write_b64 v20, v[56:57] offset:2176                     // 00000000AEF0: D89A0880 00003814
	ds_write_b64 v20, v[58:59] offset:15232                    // 00000000AEF8: D89A3B80 00003A14
	ds_write_b64 v20, v[60:61] offset:4352                     // 00000000AF00: D89A1100 00003C14
	ds_write_b64 v20, v[62:63] offset:17408                    // 00000000AF08: D89A4400 00003E14
	ds_write_b64 v20, v[64:65] offset:6528                     // 00000000AF10: D89A1980 00004014
	ds_write_b64 v20, v[66:67] offset:19584                    // 00000000AF18: D89A4C80 00004214
	ds_write_b64 v20, v[68:69] offset:8704                     // 00000000AF20: D89A2200 00004414
	ds_write_b64 v20, v[70:71] offset:21760                    // 00000000AF28: D89A5500 00004614
	ds_write_b64 v20, v[72:73] offset:10880                    // 00000000AF30: D89A2A80 00004814
	ds_write_b64 v20, v[74:75] offset:23936                    // 00000000AF38: D89A5D80 00004A14
	v_lshrrev_b32_e32 v4, 5, v0                                // 00000000AF40: 20080085
	v_xor_b32_e32 v5, 1, v4                                    // 00000000AF44: 2A0A0881
	s_mul_i32 s60, s65, 2                                      // 00000000AF48: 923C8241
	s_cmp_eq_u32 s88, 0                                        // 00000000AF4C: BF068058
	s_cselect_b32 s61, 1, 4                                    // 00000000AF50: 853D8481
	s_mul_i32 s60, s61, s60                                    // 00000000AF54: 923C3C3D
	v_readlane_b32 s82, v3, 0                                  // 00000000AF58: D2890052 00010103
	s_lshr_b32 s61, s82, 24                                    // 00000000AF60: 8F3D9852
	s_and_b32 s82, s82, 0xffffff                               // 00000000AF64: 8652FF52 00FFFFFF
	s_mul_i32 s82, s82, s71                                    // 00000000AF6C: 92524752
	s_mul_i32 s61, s60, s61                                    // 00000000AF70: 923D3D3C
	s_add_u32 s82, s82, s61                                    // 00000000AF74: 80523D52
	v_mul_lo_u32 v6, v5, s82                                   // 00000000AF78: D2850006 0000A505
	v_readlane_b32 s82, v3, 1                                  // 00000000AF80: D2890052 00010303
	s_lshr_b32 s61, s82, 24                                    // 00000000AF88: 8F3D9852
	s_and_b32 s82, s82, 0xffffff                               // 00000000AF8C: 8652FF52 00FFFFFF
	s_mul_i32 s82, s82, s71                                    // 00000000AF94: 92524752
	s_mul_i32 s61, s60, s61                                    // 00000000AF98: 923D3D3C
	s_add_u32 s82, s82, s61                                    // 00000000AF9C: 80523D52
	v_mul_lo_u32 v7, v4, s82                                   // 00000000AFA0: D2850007 0000A504
	v_add_u32_e32 v39, v6, v7                                  // 00000000AFA8: 684E0F06
	v_readlane_b32 s82, v3, 2                                  // 00000000AFAC: D2890052 00010503
	s_lshr_b32 s61, s82, 24                                    // 00000000AFB4: 8F3D9852
	s_and_b32 s82, s82, 0xffffff                               // 00000000AFB8: 8652FF52 00FFFFFF
	s_mul_i32 s82, s82, s71                                    // 00000000AFC0: 92524752
	s_mul_i32 s61, s60, s61                                    // 00000000AFC4: 923D3D3C
	s_add_u32 s82, s82, s61                                    // 00000000AFC8: 80523D52
	v_mul_lo_u32 v6, v5, s82                                   // 00000000AFCC: D2850006 0000A505
	v_readlane_b32 s82, v3, 3                                  // 00000000AFD4: D2890052 00010703
	s_lshr_b32 s61, s82, 24                                    // 00000000AFDC: 8F3D9852
	s_and_b32 s82, s82, 0xffffff                               // 00000000AFE0: 8652FF52 00FFFFFF
	s_mul_i32 s82, s82, s71                                    // 00000000AFE8: 92524752
	s_mul_i32 s61, s60, s61                                    // 00000000AFEC: 923D3D3C
	s_add_u32 s82, s82, s61                                    // 00000000AFF0: 80523D52
	v_mul_lo_u32 v7, v4, s82                                   // 00000000AFF4: D2850007 0000A504
	v_add_u32_e32 v40, v6, v7                                  // 00000000AFFC: 68500F06
	v_readlane_b32 s82, v3, 4                                  // 00000000B000: D2890052 00010903
	s_lshr_b32 s61, s82, 24                                    // 00000000B008: 8F3D9852
	s_and_b32 s82, s82, 0xffffff                               // 00000000B00C: 8652FF52 00FFFFFF
	s_mul_i32 s82, s82, s71                                    // 00000000B014: 92524752
	s_mul_i32 s61, s60, s61                                    // 00000000B018: 923D3D3C
	s_add_u32 s82, s82, s61                                    // 00000000B01C: 80523D52
	v_mul_lo_u32 v6, v5, s82                                   // 00000000B020: D2850006 0000A505
	v_readlane_b32 s82, v3, 5                                  // 00000000B028: D2890052 00010B03
	s_lshr_b32 s61, s82, 24                                    // 00000000B030: 8F3D9852
	s_and_b32 s82, s82, 0xffffff                               // 00000000B034: 8652FF52 00FFFFFF
	s_mul_i32 s82, s82, s71                                    // 00000000B03C: 92524752
	s_mul_i32 s61, s60, s61                                    // 00000000B040: 923D3D3C
	s_add_u32 s82, s82, s61                                    // 00000000B044: 80523D52
	v_mul_lo_u32 v7, v4, s82                                   // 00000000B048: D2850007 0000A504
	v_add_u32_e32 v41, v6, v7                                  // 00000000B050: 68520F06
	v_readlane_b32 s82, v3, 6                                  // 00000000B054: D2890052 00010D03
	s_lshr_b32 s61, s82, 24                                    // 00000000B05C: 8F3D9852
	s_and_b32 s82, s82, 0xffffff                               // 00000000B060: 8652FF52 00FFFFFF
	s_mul_i32 s82, s82, s71                                    // 00000000B068: 92524752
	s_mul_i32 s61, s60, s61                                    // 00000000B06C: 923D3D3C
	s_add_u32 s82, s82, s61                                    // 00000000B070: 80523D52
	v_mul_lo_u32 v6, v5, s82                                   // 00000000B074: D2850006 0000A505
	v_readlane_b32 s82, v3, 7                                  // 00000000B07C: D2890052 00010F03
	s_lshr_b32 s61, s82, 24                                    // 00000000B084: 8F3D9852
	s_and_b32 s82, s82, 0xffffff                               // 00000000B088: 8652FF52 00FFFFFF
	s_mul_i32 s82, s82, s71                                    // 00000000B090: 92524752
	s_mul_i32 s61, s60, s61                                    // 00000000B094: 923D3D3C
	s_add_u32 s82, s82, s61                                    // 00000000B098: 80523D52
	v_mul_lo_u32 v7, v4, s82                                   // 00000000B09C: D2850007 0000A504
	v_add_u32_e32 v42, v6, v7                                  // 00000000B0A4: 68540F06
	v_and_b32_e32 v4, 31, v0                                   // 00000000B0A8: 2608009F
	v_lshrrev_b32_e32 v4, 1, v4                                // 00000000B0AC: 20080881
	s_cmp_eq_u32 s88, 0                                        // 00000000B0B0: BF068058
	s_cselect_b32 s61, 2, 4                                    // 00000000B0B4: 853D8482
	v_mul_lo_u32 v4, v4, s61                                   // 00000000B0B8: D2850004 00007B04
	v_and_b32_e64 v5, v0, 1                                    // 00000000B0C0: D1130005 00010300
	v_add_u32_e32 v4, v4, v5                                   // 00000000B0C8: 68080B04
	v_lshlrev_b32_e32 v4, 2, v4                                // 00000000B0CC: 24080882
	v_add_u32_e32 v39, v39, v4                                 // 00000000B0D0: 684E0927
	v_add_u32_e32 v40, v40, v4                                 // 00000000B0D4: 68500928
	v_add_u32_e32 v41, v41, v4                                 // 00000000B0D8: 68520929
	v_add_u32_e32 v42, v42, v4                                 // 00000000B0DC: 6854092A
	s_waitcnt lgkmcnt(0)                                       // 00000000B0E0: BF8CC07F
	s_barrier                                                  // 00000000B0E4: BF8A0000
	ds_read_b32 v52, v21                                       // 00000000B0E8: D86C0000 34000015
	ds_read_b32 v53, v21 offset:64                             // 00000000B0F0: D86C0040 35000015
	ds_read_b32 v54, v21 offset:2176                           // 00000000B0F8: D86C0880 36000015
	ds_read_b32 v55, v21 offset:2240                           // 00000000B100: D86C08C0 37000015
	ds_read_b32 v56, v21 offset:4352                           // 00000000B108: D86C1100 38000015
	ds_read_b32 v57, v21 offset:4416                           // 00000000B110: D86C1140 39000015
	ds_read_b32 v58, v21 offset:6528                           // 00000000B118: D86C1980 3A000015
	ds_read_b32 v59, v21 offset:6592                           // 00000000B120: D86C19C0 3B000015
	ds_read_b32 v60, v21 offset:8704                           // 00000000B128: D86C2200 3C000015
	ds_read_b32 v61, v21 offset:8768                           // 00000000B130: D86C2240 3D000015
	ds_read_b32 v62, v21 offset:10880                          // 00000000B138: D86C2A80 3E000015
	ds_read_b32 v63, v21 offset:10944                          // 00000000B140: D86C2AC0 3F000015
	ds_read_b32 v64, v21 offset:13056                          // 00000000B148: D86C3300 40000015
	ds_read_b32 v65, v21 offset:13120                          // 00000000B150: D86C3340 41000015
	ds_read_b32 v66, v21 offset:15232                          // 00000000B158: D86C3B80 42000015
	ds_read_b32 v67, v21 offset:15296                          // 00000000B160: D86C3BC0 43000015
	ds_read_b32 v68, v21 offset:17408                          // 00000000B168: D86C4400 44000015
	ds_read_b32 v69, v21 offset:17472                          // 00000000B170: D86C4440 45000015
	ds_read_b32 v70, v21 offset:19584                          // 00000000B178: D86C4C80 46000015
	ds_read_b32 v71, v21 offset:19648                          // 00000000B180: D86C4CC0 47000015
	ds_read_b32 v72, v21 offset:21760                          // 00000000B188: D86C5500 48000015
	ds_read_b32 v73, v21 offset:21824                          // 00000000B190: D86C5540 49000015
	ds_read_b32 v74, v21 offset:23936                          // 00000000B198: D86C5D80 4A000015
	ds_read_b32 v75, v21 offset:24000                          // 00000000B1A0: D86C5DC0 4B000015
	s_waitcnt lgkmcnt(0)                                       // 00000000B1A8: BF8CC07F
	s_mov_b32 s36, -1                                          // 00000000B1AC: BEA400C1
	s_mov_b32 s37, -1                                          // 00000000B1B0: BEA500C1
	v_mov_b32_e32 v7, 0                                        // 00000000B1B4: 7E0E0280
	s_or_b32 s9, s9, 0x40000                                   // 00000000B1B8: 8709FF09 00040000
	s_mov_b64 exec, s[36:37]                                   // 00000000B1C0: BEFE0124
	v_mov_b32_e32 v6, v39                                      // 00000000B1C4: 7E0C0327
	s_mov_b64 s[60:61], 0                                      // 00000000B1C8: BEBC0180
	v_readlane_b32 s82, v3, 0                                  // 00000000B1CC: D2890052 00010103
	s_and_b32 s82, s82, 0xffffff                               // 00000000B1D4: 8652FF52 00FFFFFF
	s_cmp_lt_u32 s82, s66                                      // 00000000B1DC: BF0A4252
	s_cselect_b32 s20, s36, s60                                // 00000000B1E0: 85143C24
	v_readlane_b32 s82, v3, 1                                  // 00000000B1E4: D2890052 00010303
	s_and_b32 s82, s82, 0xffffff                               // 00000000B1EC: 8652FF52 00FFFFFF
	s_cmp_lt_u32 s82, s66                                      // 00000000B1F4: BF0A4252
	s_cselect_b32 s21, s36, s60                                // 00000000B1F8: 85153C24
	s_mov_b64 exec, s[20:21]                                   // 00000000B1FC: BEFE0114
	buffer_store_dword v52, v6, s[8:11], 0 offen               // 00000000B200: E0701000 80023406
	buffer_store_dword v54, v6, s[8:11], 0 offen offset:128    // 00000000B208: E0701080 80023606
	buffer_store_dword v56, v6, s[8:11], 0 offen offset:256    // 00000000B210: E0701100 80023806
	buffer_store_dword v58, v6, s[8:11], 0 offen offset:384    // 00000000B218: E0701180 80023A06
	buffer_store_dword v60, v6, s[8:11], 0 offen offset:512    // 00000000B220: E0701200 80023C06
	buffer_store_dword v62, v6, s[8:11], 0 offen offset:640    // 00000000B228: E0701280 80023E06
	s_mov_b64 exec, s[36:37]                                   // 00000000B230: BEFE0124
	v_mov_b32_e32 v6, v40                                      // 00000000B234: 7E0C0328
	s_mov_b64 s[60:61], 0                                      // 00000000B238: BEBC0180
	v_readlane_b32 s82, v3, 2                                  // 00000000B23C: D2890052 00010503
	s_and_b32 s82, s82, 0xffffff                               // 00000000B244: 8652FF52 00FFFFFF
	s_cmp_lt_u32 s82, s66                                      // 00000000B24C: BF0A4252
	s_cselect_b32 s20, s36, s60                                // 00000000B250: 85143C24
	v_readlane_b32 s82, v3, 3                                  // 00000000B254: D2890052 00010703
	s_and_b32 s82, s82, 0xffffff                               // 00000000B25C: 8652FF52 00FFFFFF
	s_cmp_lt_u32 s82, s66                                      // 00000000B264: BF0A4252
	s_cselect_b32 s21, s36, s60                                // 00000000B268: 85153C24
	s_mov_b64 exec, s[20:21]                                   // 00000000B26C: BEFE0114
	buffer_store_dword v53, v6, s[8:11], 0 offen               // 00000000B270: E0701000 80023506
	buffer_store_dword v55, v6, s[8:11], 0 offen offset:128    // 00000000B278: E0701080 80023706
	buffer_store_dword v57, v6, s[8:11], 0 offen offset:256    // 00000000B280: E0701100 80023906
	buffer_store_dword v59, v6, s[8:11], 0 offen offset:384    // 00000000B288: E0701180 80023B06
	buffer_store_dword v61, v6, s[8:11], 0 offen offset:512    // 00000000B290: E0701200 80023D06
	buffer_store_dword v63, v6, s[8:11], 0 offen offset:640    // 00000000B298: E0701280 80023F06
	s_mov_b64 exec, s[36:37]                                   // 00000000B2A0: BEFE0124
	v_mov_b32_e32 v6, v41                                      // 00000000B2A4: 7E0C0329
	s_mov_b64 s[60:61], 0                                      // 00000000B2A8: BEBC0180
	v_readlane_b32 s82, v3, 4                                  // 00000000B2AC: D2890052 00010903
	s_and_b32 s82, s82, 0xffffff                               // 00000000B2B4: 8652FF52 00FFFFFF
	s_cmp_lt_u32 s82, s66                                      // 00000000B2BC: BF0A4252
	s_cselect_b32 s20, s36, s60                                // 00000000B2C0: 85143C24
	v_readlane_b32 s82, v3, 5                                  // 00000000B2C4: D2890052 00010B03
	s_and_b32 s82, s82, 0xffffff                               // 00000000B2CC: 8652FF52 00FFFFFF
	s_cmp_lt_u32 s82, s66                                      // 00000000B2D4: BF0A4252
	s_cselect_b32 s21, s36, s60                                // 00000000B2D8: 85153C24
	s_mov_b64 exec, s[20:21]                                   // 00000000B2DC: BEFE0114
	buffer_store_dword v64, v6, s[8:11], 0 offen               // 00000000B2E0: E0701000 80024006
	buffer_store_dword v66, v6, s[8:11], 0 offen offset:128    // 00000000B2E8: E0701080 80024206
	buffer_store_dword v68, v6, s[8:11], 0 offen offset:256    // 00000000B2F0: E0701100 80024406
	buffer_store_dword v70, v6, s[8:11], 0 offen offset:384    // 00000000B2F8: E0701180 80024606
	buffer_store_dword v72, v6, s[8:11], 0 offen offset:512    // 00000000B300: E0701200 80024806
	buffer_store_dword v74, v6, s[8:11], 0 offen offset:640    // 00000000B308: E0701280 80024A06
	s_mov_b64 exec, s[36:37]                                   // 00000000B310: BEFE0124
	v_mov_b32_e32 v6, v42                                      // 00000000B314: 7E0C032A
	s_mov_b64 s[60:61], 0                                      // 00000000B318: BEBC0180
	v_readlane_b32 s82, v3, 6                                  // 00000000B31C: D2890052 00010D03
	s_and_b32 s82, s82, 0xffffff                               // 00000000B324: 8652FF52 00FFFFFF
	s_cmp_lt_u32 s82, s66                                      // 00000000B32C: BF0A4252
	s_cselect_b32 s20, s36, s60                                // 00000000B330: 85143C24
	v_readlane_b32 s82, v3, 7                                  // 00000000B334: D2890052 00010F03
	s_and_b32 s82, s82, 0xffffff                               // 00000000B33C: 8652FF52 00FFFFFF
	s_cmp_lt_u32 s82, s66                                      // 00000000B344: BF0A4252
	s_cselect_b32 s21, s36, s60                                // 00000000B348: 85153C24
	s_mov_b64 exec, s[20:21]                                   // 00000000B34C: BEFE0114
	buffer_store_dword v65, v6, s[8:11], 0 offen               // 00000000B350: E0701000 80024106
	buffer_store_dword v67, v6, s[8:11], 0 offen offset:128    // 00000000B358: E0701080 80024306
	buffer_store_dword v69, v6, s[8:11], 0 offen offset:256    // 00000000B360: E0701100 80024506
	buffer_store_dword v71, v6, s[8:11], 0 offen offset:384    // 00000000B368: E0701180 80024706
	buffer_store_dword v73, v6, s[8:11], 0 offen offset:512    // 00000000B370: E0701200 80024906
	buffer_store_dword v75, v6, s[8:11], 0 offen offset:640    // 00000000B378: E0701280 80024B06
	s_mov_b64 exec, s[36:37]                                   // 00000000B380: BEFE0124
	s_branch label_2547                                        // 00000000B384: BF820362

000000000000b388 <label_21E5>:
	ds_write_b64 v20, v[52:53]                                 // 00000000B388: D89A0000 00003414
	ds_write_b64 v20, v[56:57] offset:13056                    // 00000000B390: D89A3300 00003814
	ds_write_b64 v20, v[60:61] offset:2176                     // 00000000B398: D89A0880 00003C14
	ds_write_b64 v20, v[64:65] offset:15232                    // 00000000B3A0: D89A3B80 00004014
	ds_write_b64 v20, v[68:69] offset:4352                     // 00000000B3A8: D89A1100 00004414
	ds_write_b64 v20, v[72:73] offset:17408                    // 00000000B3B0: D89A4400 00004814
	ds_write_b64 v20, v[76:77] offset:6528                     // 00000000B3B8: D89A1980 00004C14
	ds_write_b64 v20, v[80:81] offset:19584                    // 00000000B3C0: D89A4C80 00005014
	ds_write_b64 v20, v[84:85] offset:8704                     // 00000000B3C8: D89A2200 00005414
	ds_write_b64 v20, v[88:89] offset:21760                    // 00000000B3D0: D89A5500 00005814
	ds_write_b64 v20, v[92:93] offset:10880                    // 00000000B3D8: D89A2A80 00005C14
	ds_write_b64 v20, v[96:97] offset:23936                    // 00000000B3E0: D89A5D80 00006014
	v_lshrrev_b32_e32 v4, 5, v0                                // 00000000B3E8: 20080085
	v_xor_b32_e32 v5, 1, v4                                    // 00000000B3EC: 2A0A0881
	s_mul_i32 s60, s65, 2                                      // 00000000B3F0: 923C8241
	s_cmp_eq_u32 s88, 0                                        // 00000000B3F4: BF068058
	s_cselect_b32 s61, 1, 4                                    // 00000000B3F8: 853D8481
	s_mul_i32 s60, s61, s60                                    // 00000000B3FC: 923C3C3D
	v_readlane_b32 s82, v3, 0                                  // 00000000B400: D2890052 00010103
	s_lshr_b32 s61, s82, 24                                    // 00000000B408: 8F3D9852
	s_and_b32 s82, s82, 0xffffff                               // 00000000B40C: 8652FF52 00FFFFFF
	s_mul_i32 s82, s82, s71                                    // 00000000B414: 92524752
	s_mul_i32 s61, s60, s61                                    // 00000000B418: 923D3D3C
	s_add_u32 s82, s82, s61                                    // 00000000B41C: 80523D52
	v_mul_lo_u32 v6, v5, s82                                   // 00000000B420: D2850006 0000A505
	v_readlane_b32 s82, v3, 1                                  // 00000000B428: D2890052 00010303
	s_lshr_b32 s61, s82, 24                                    // 00000000B430: 8F3D9852
	s_and_b32 s82, s82, 0xffffff                               // 00000000B434: 8652FF52 00FFFFFF
	s_mul_i32 s82, s82, s71                                    // 00000000B43C: 92524752
	s_mul_i32 s61, s60, s61                                    // 00000000B440: 923D3D3C
	s_add_u32 s82, s82, s61                                    // 00000000B444: 80523D52
	v_mul_lo_u32 v7, v4, s82                                   // 00000000B448: D2850007 0000A504
	v_add_u32_e32 v39, v6, v7                                  // 00000000B450: 684E0F06
	v_readlane_b32 s82, v3, 2                                  // 00000000B454: D2890052 00010503
	s_lshr_b32 s61, s82, 24                                    // 00000000B45C: 8F3D9852
	s_and_b32 s82, s82, 0xffffff                               // 00000000B460: 8652FF52 00FFFFFF
	s_mul_i32 s82, s82, s71                                    // 00000000B468: 92524752
	s_mul_i32 s61, s60, s61                                    // 00000000B46C: 923D3D3C
	s_add_u32 s82, s82, s61                                    // 00000000B470: 80523D52
	v_mul_lo_u32 v6, v5, s82                                   // 00000000B474: D2850006 0000A505
	v_readlane_b32 s82, v3, 3                                  // 00000000B47C: D2890052 00010703
	s_lshr_b32 s61, s82, 24                                    // 00000000B484: 8F3D9852
	s_and_b32 s82, s82, 0xffffff                               // 00000000B488: 8652FF52 00FFFFFF
	s_mul_i32 s82, s82, s71                                    // 00000000B490: 92524752
	s_mul_i32 s61, s60, s61                                    // 00000000B494: 923D3D3C
	s_add_u32 s82, s82, s61                                    // 00000000B498: 80523D52
	v_mul_lo_u32 v7, v4, s82                                   // 00000000B49C: D2850007 0000A504
	v_add_u32_e32 v40, v6, v7                                  // 00000000B4A4: 68500F06
	v_readlane_b32 s82, v3, 4                                  // 00000000B4A8: D2890052 00010903
	s_lshr_b32 s61, s82, 24                                    // 00000000B4B0: 8F3D9852
	s_and_b32 s82, s82, 0xffffff                               // 00000000B4B4: 8652FF52 00FFFFFF
	s_mul_i32 s82, s82, s71                                    // 00000000B4BC: 92524752
	s_mul_i32 s61, s60, s61                                    // 00000000B4C0: 923D3D3C
	s_add_u32 s82, s82, s61                                    // 00000000B4C4: 80523D52
	v_mul_lo_u32 v6, v5, s82                                   // 00000000B4C8: D2850006 0000A505
	v_readlane_b32 s82, v3, 5                                  // 00000000B4D0: D2890052 00010B03
	s_lshr_b32 s61, s82, 24                                    // 00000000B4D8: 8F3D9852
	s_and_b32 s82, s82, 0xffffff                               // 00000000B4DC: 8652FF52 00FFFFFF
	s_mul_i32 s82, s82, s71                                    // 00000000B4E4: 92524752
	s_mul_i32 s61, s60, s61                                    // 00000000B4E8: 923D3D3C
	s_add_u32 s82, s82, s61                                    // 00000000B4EC: 80523D52
	v_mul_lo_u32 v7, v4, s82                                   // 00000000B4F0: D2850007 0000A504
	v_add_u32_e32 v41, v6, v7                                  // 00000000B4F8: 68520F06
	v_readlane_b32 s82, v3, 6                                  // 00000000B4FC: D2890052 00010D03
	s_lshr_b32 s61, s82, 24                                    // 00000000B504: 8F3D9852
	s_and_b32 s82, s82, 0xffffff                               // 00000000B508: 8652FF52 00FFFFFF
	s_mul_i32 s82, s82, s71                                    // 00000000B510: 92524752
	s_mul_i32 s61, s60, s61                                    // 00000000B514: 923D3D3C
	s_add_u32 s82, s82, s61                                    // 00000000B518: 80523D52
	v_mul_lo_u32 v6, v5, s82                                   // 00000000B51C: D2850006 0000A505
	v_readlane_b32 s82, v3, 7                                  // 00000000B524: D2890052 00010F03
	s_lshr_b32 s61, s82, 24                                    // 00000000B52C: 8F3D9852
	s_and_b32 s82, s82, 0xffffff                               // 00000000B530: 8652FF52 00FFFFFF
	s_mul_i32 s82, s82, s71                                    // 00000000B538: 92524752
	s_mul_i32 s61, s60, s61                                    // 00000000B53C: 923D3D3C
	s_add_u32 s82, s82, s61                                    // 00000000B540: 80523D52
	v_mul_lo_u32 v7, v4, s82                                   // 00000000B544: D2850007 0000A504
	v_add_u32_e32 v42, v6, v7                                  // 00000000B54C: 68540F06
	v_and_b32_e32 v4, 31, v0                                   // 00000000B550: 2608009F
	v_lshrrev_b32_e32 v4, 1, v4                                // 00000000B554: 20080881
	s_cmp_eq_u32 s88, 0                                        // 00000000B558: BF068058
	s_cselect_b32 s61, 2, 4                                    // 00000000B55C: 853D8482
	v_mul_lo_u32 v4, v4, s61                                   // 00000000B560: D2850004 00007B04
	v_and_b32_e64 v5, v0, 1                                    // 00000000B568: D1130005 00010300
	v_add_u32_e32 v4, v4, v5                                   // 00000000B570: 68080B04
	v_lshlrev_b32_e32 v4, 2, v4                                // 00000000B574: 24080882
	v_add_u32_e32 v39, v39, v4                                 // 00000000B578: 684E0927
	v_add_u32_e32 v40, v40, v4                                 // 00000000B57C: 68500928
	v_add_u32_e32 v41, v41, v4                                 // 00000000B580: 68520929
	v_add_u32_e32 v42, v42, v4                                 // 00000000B584: 6854092A
	s_waitcnt lgkmcnt(0)                                       // 00000000B588: BF8CC07F
	s_barrier                                                  // 00000000B58C: BF8A0000
	ds_read_b32 v52, v21                                       // 00000000B590: D86C0000 34000015
	ds_read_b32 v53, v21 offset:64                             // 00000000B598: D86C0040 35000015
	ds_read_b32 v56, v21 offset:2176                           // 00000000B5A0: D86C0880 38000015
	ds_read_b32 v57, v21 offset:2240                           // 00000000B5A8: D86C08C0 39000015
	ds_read_b32 v60, v21 offset:4352                           // 00000000B5B0: D86C1100 3C000015
	ds_read_b32 v61, v21 offset:4416                           // 00000000B5B8: D86C1140 3D000015
	ds_read_b32 v64, v21 offset:6528                           // 00000000B5C0: D86C1980 40000015
	ds_read_b32 v65, v21 offset:6592                           // 00000000B5C8: D86C19C0 41000015
	ds_read_b32 v68, v21 offset:8704                           // 00000000B5D0: D86C2200 44000015
	ds_read_b32 v69, v21 offset:8768                           // 00000000B5D8: D86C2240 45000015
	ds_read_b32 v72, v21 offset:10880                          // 00000000B5E0: D86C2A80 48000015
	ds_read_b32 v73, v21 offset:10944                          // 00000000B5E8: D86C2AC0 49000015
	ds_read_b32 v76, v21 offset:13056                          // 00000000B5F0: D86C3300 4C000015
	ds_read_b32 v77, v21 offset:13120                          // 00000000B5F8: D86C3340 4D000015
	ds_read_b32 v80, v21 offset:15232                          // 00000000B600: D86C3B80 50000015
	ds_read_b32 v81, v21 offset:15296                          // 00000000B608: D86C3BC0 51000015
	ds_read_b32 v84, v21 offset:17408                          // 00000000B610: D86C4400 54000015
	ds_read_b32 v85, v21 offset:17472                          // 00000000B618: D86C4440 55000015
	ds_read_b32 v88, v21 offset:19584                          // 00000000B620: D86C4C80 58000015
	ds_read_b32 v89, v21 offset:19648                          // 00000000B628: D86C4CC0 59000015
	ds_read_b32 v92, v21 offset:21760                          // 00000000B630: D86C5500 5C000015
	ds_read_b32 v93, v21 offset:21824                          // 00000000B638: D86C5540 5D000015
	ds_read_b32 v96, v21 offset:23936                          // 00000000B640: D86C5D80 60000015
	ds_read_b32 v97, v21 offset:24000                          // 00000000B648: D86C5DC0 61000015
	s_waitcnt lgkmcnt(0)                                       // 00000000B650: BF8CC07F
	s_mov_b32 s36, -1                                          // 00000000B654: BEA400C1
	s_mov_b32 s37, -1                                          // 00000000B658: BEA500C1
	v_mov_b32_e32 v7, 0                                        // 00000000B65C: 7E0E0280
	s_mov_b64 exec, s[36:37]                                   // 00000000B660: BEFE0124
	v_mov_b32_e32 v6, v39                                      // 00000000B664: 7E0C0327
	s_mov_b64 s[60:61], 0                                      // 00000000B668: BEBC0180
	v_readlane_b32 s82, v3, 0                                  // 00000000B66C: D2890052 00010103
	s_and_b32 s82, s82, 0xffffff                               // 00000000B674: 8652FF52 00FFFFFF
	s_cmp_lt_u32 s82, s66                                      // 00000000B67C: BF0A4252
	s_cselect_b32 s20, s36, s60                                // 00000000B680: 85143C24
	v_readlane_b32 s82, v3, 1                                  // 00000000B684: D2890052 00010303
	s_and_b32 s82, s82, 0xffffff                               // 00000000B68C: 8652FF52 00FFFFFF
	s_cmp_lt_u32 s82, s66                                      // 00000000B694: BF0A4252
	s_cselect_b32 s21, s36, s60                                // 00000000B698: 85153C24
	s_mov_b64 exec, s[20:21]                                   // 00000000B69C: BEFE0114
	global_atomic_add_f32 v6, v52, s[8:9]                      // 00000000B6A0: DD348000 00083406
	global_atomic_add_f32 v6, v56, s[8:9] offset:256           // 00000000B6A8: DD348100 00083806
	global_atomic_add_f32 v6, v60, s[8:9] offset:512           // 00000000B6B0: DD348200 00083C06
	global_atomic_add_f32 v6, v64, s[8:9] offset:768           // 00000000B6B8: DD348300 00084006
	global_atomic_add_f32 v6, v68, s[8:9] offset:1024          // 00000000B6C0: DD348400 00084406
	global_atomic_add_f32 v6, v72, s[8:9] offset:1280          // 00000000B6C8: DD348500 00084806
	s_mov_b64 exec, s[36:37]                                   // 00000000B6D0: BEFE0124
	v_mov_b32_e32 v6, v40                                      // 00000000B6D4: 7E0C0328
	s_mov_b64 s[60:61], 0                                      // 00000000B6D8: BEBC0180
	v_readlane_b32 s82, v3, 2                                  // 00000000B6DC: D2890052 00010503
	s_and_b32 s82, s82, 0xffffff                               // 00000000B6E4: 8652FF52 00FFFFFF
	s_cmp_lt_u32 s82, s66                                      // 00000000B6EC: BF0A4252
	s_cselect_b32 s20, s36, s60                                // 00000000B6F0: 85143C24
	v_readlane_b32 s82, v3, 3                                  // 00000000B6F4: D2890052 00010703
	s_and_b32 s82, s82, 0xffffff                               // 00000000B6FC: 8652FF52 00FFFFFF
	s_cmp_lt_u32 s82, s66                                      // 00000000B704: BF0A4252
	s_cselect_b32 s21, s36, s60                                // 00000000B708: 85153C24
	s_mov_b64 exec, s[20:21]                                   // 00000000B70C: BEFE0114
	global_atomic_add_f32 v6, v53, s[8:9]                      // 00000000B710: DD348000 00083506
	global_atomic_add_f32 v6, v57, s[8:9] offset:256           // 00000000B718: DD348100 00083906
	global_atomic_add_f32 v6, v61, s[8:9] offset:512           // 00000000B720: DD348200 00083D06
	global_atomic_add_f32 v6, v65, s[8:9] offset:768           // 00000000B728: DD348300 00084106
	global_atomic_add_f32 v6, v69, s[8:9] offset:1024          // 00000000B730: DD348400 00084506
	global_atomic_add_f32 v6, v73, s[8:9] offset:1280          // 00000000B738: DD348500 00084906
	s_mov_b64 exec, s[36:37]                                   // 00000000B740: BEFE0124
	v_mov_b32_e32 v6, v41                                      // 00000000B744: 7E0C0329
	s_mov_b64 s[60:61], 0                                      // 00000000B748: BEBC0180
	v_readlane_b32 s82, v3, 4                                  // 00000000B74C: D2890052 00010903
	s_and_b32 s82, s82, 0xffffff                               // 00000000B754: 8652FF52 00FFFFFF
	s_cmp_lt_u32 s82, s66                                      // 00000000B75C: BF0A4252
	s_cselect_b32 s20, s36, s60                                // 00000000B760: 85143C24
	v_readlane_b32 s82, v3, 5                                  // 00000000B764: D2890052 00010B03
	s_and_b32 s82, s82, 0xffffff                               // 00000000B76C: 8652FF52 00FFFFFF
	s_cmp_lt_u32 s82, s66                                      // 00000000B774: BF0A4252
	s_cselect_b32 s21, s36, s60                                // 00000000B778: 85153C24
	s_mov_b64 exec, s[20:21]                                   // 00000000B77C: BEFE0114
	global_atomic_add_f32 v6, v76, s[8:9]                      // 00000000B780: DD348000 00084C06
	global_atomic_add_f32 v6, v80, s[8:9] offset:256           // 00000000B788: DD348100 00085006
	global_atomic_add_f32 v6, v84, s[8:9] offset:512           // 00000000B790: DD348200 00085406
	global_atomic_add_f32 v6, v88, s[8:9] offset:768           // 00000000B798: DD348300 00085806
	global_atomic_add_f32 v6, v92, s[8:9] offset:1024          // 00000000B7A0: DD348400 00085C06
	global_atomic_add_f32 v6, v96, s[8:9] offset:1280          // 00000000B7A8: DD348500 00086006
	s_mov_b64 exec, s[36:37]                                   // 00000000B7B0: BEFE0124
	v_mov_b32_e32 v6, v42                                      // 00000000B7B4: 7E0C032A
	s_mov_b64 s[60:61], 0                                      // 00000000B7B8: BEBC0180
	v_readlane_b32 s82, v3, 6                                  // 00000000B7BC: D2890052 00010D03
	s_and_b32 s82, s82, 0xffffff                               // 00000000B7C4: 8652FF52 00FFFFFF
	s_cmp_lt_u32 s82, s66                                      // 00000000B7CC: BF0A4252
	s_cselect_b32 s20, s36, s60                                // 00000000B7D0: 85143C24
	v_readlane_b32 s82, v3, 7                                  // 00000000B7D4: D2890052 00010F03
	s_and_b32 s82, s82, 0xffffff                               // 00000000B7DC: 8652FF52 00FFFFFF
	s_cmp_lt_u32 s82, s66                                      // 00000000B7E4: BF0A4252
	s_cselect_b32 s21, s36, s60                                // 00000000B7E8: 85153C24
	s_mov_b64 exec, s[20:21]                                   // 00000000B7EC: BEFE0114
	global_atomic_add_f32 v6, v77, s[8:9]                      // 00000000B7F0: DD348000 00084D06
	global_atomic_add_f32 v6, v81, s[8:9] offset:256           // 00000000B7F8: DD348100 00085106
	global_atomic_add_f32 v6, v85, s[8:9] offset:512           // 00000000B800: DD348200 00085506
	global_atomic_add_f32 v6, v89, s[8:9] offset:768           // 00000000B808: DD348300 00085906
	global_atomic_add_f32 v6, v93, s[8:9] offset:1024          // 00000000B810: DD348400 00085D06
	global_atomic_add_f32 v6, v97, s[8:9] offset:1280          // 00000000B818: DD348500 00086106
	s_mov_b64 exec, s[36:37]                                   // 00000000B820: BEFE0124
	ds_write_b64 v20, v[54:55]                                 // 00000000B824: D89A0000 00003614
	ds_write_b64 v20, v[58:59] offset:13056                    // 00000000B82C: D89A3300 00003A14
	ds_write_b64 v20, v[62:63] offset:2176                     // 00000000B834: D89A0880 00003E14
	ds_write_b64 v20, v[66:67] offset:15232                    // 00000000B83C: D89A3B80 00004214
	ds_write_b64 v20, v[70:71] offset:4352                     // 00000000B844: D89A1100 00004614
	ds_write_b64 v20, v[74:75] offset:17408                    // 00000000B84C: D89A4400 00004A14
	ds_write_b64 v20, v[78:79] offset:6528                     // 00000000B854: D89A1980 00004E14
	ds_write_b64 v20, v[82:83] offset:19584                    // 00000000B85C: D89A4C80 00005214
	ds_write_b64 v20, v[86:87] offset:8704                     // 00000000B864: D89A2200 00005614
	ds_write_b64 v20, v[90:91] offset:21760                    // 00000000B86C: D89A5500 00005A14
	ds_write_b64 v20, v[94:95] offset:10880                    // 00000000B874: D89A2A80 00005E14
	ds_write_b64 v20, v[98:99] offset:23936                    // 00000000B87C: D89A5D80 00006214
	s_waitcnt lgkmcnt(0)                                       // 00000000B884: BF8CC07F
	s_barrier                                                  // 00000000B888: BF8A0000
	ds_read_b32 v54, v21                                       // 00000000B88C: D86C0000 36000015
	ds_read_b32 v55, v21 offset:64                             // 00000000B894: D86C0040 37000015
	ds_read_b32 v58, v21 offset:2176                           // 00000000B89C: D86C0880 3A000015
	ds_read_b32 v59, v21 offset:2240                           // 00000000B8A4: D86C08C0 3B000015
	ds_read_b32 v62, v21 offset:4352                           // 00000000B8AC: D86C1100 3E000015
	ds_read_b32 v63, v21 offset:4416                           // 00000000B8B4: D86C1140 3F000015
	ds_read_b32 v66, v21 offset:6528                           // 00000000B8BC: D86C1980 42000015
	ds_read_b32 v67, v21 offset:6592                           // 00000000B8C4: D86C19C0 43000015
	ds_read_b32 v70, v21 offset:8704                           // 00000000B8CC: D86C2200 46000015
	ds_read_b32 v71, v21 offset:8768                           // 00000000B8D4: D86C2240 47000015
	ds_read_b32 v74, v21 offset:10880                          // 00000000B8DC: D86C2A80 4A000015
	ds_read_b32 v75, v21 offset:10944                          // 00000000B8E4: D86C2AC0 4B000015
	ds_read_b32 v78, v21 offset:13056                          // 00000000B8EC: D86C3300 4E000015
	ds_read_b32 v79, v21 offset:13120                          // 00000000B8F4: D86C3340 4F000015
	ds_read_b32 v82, v21 offset:15232                          // 00000000B8FC: D86C3B80 52000015
	ds_read_b32 v83, v21 offset:15296                          // 00000000B904: D86C3BC0 53000015
	ds_read_b32 v86, v21 offset:17408                          // 00000000B90C: D86C4400 56000015
	ds_read_b32 v87, v21 offset:17472                          // 00000000B914: D86C4440 57000015
	ds_read_b32 v90, v21 offset:19584                          // 00000000B91C: D86C4C80 5A000015
	ds_read_b32 v91, v21 offset:19648                          // 00000000B924: D86C4CC0 5B000015
	ds_read_b32 v94, v21 offset:21760                          // 00000000B92C: D86C5500 5E000015
	ds_read_b32 v95, v21 offset:21824                          // 00000000B934: D86C5540 5F000015
	ds_read_b32 v98, v21 offset:23936                          // 00000000B93C: D86C5D80 62000015
	ds_read_b32 v99, v21 offset:24000                          // 00000000B944: D86C5DC0 63000015
	s_waitcnt lgkmcnt(0)                                       // 00000000B94C: BF8CC07F
	v_mov_b32_e32 v7, 0                                        // 00000000B950: 7E0E0280
	s_mov_b64 exec, s[36:37]                                   // 00000000B954: BEFE0124
	v_mov_b32_e32 v6, v39                                      // 00000000B958: 7E0C0327
	s_mov_b64 s[60:61], 0                                      // 00000000B95C: BEBC0180
	v_readlane_b32 s82, v3, 0                                  // 00000000B960: D2890052 00010103
	s_and_b32 s82, s82, 0xffffff                               // 00000000B968: 8652FF52 00FFFFFF
	s_cmp_lt_u32 s82, s66                                      // 00000000B970: BF0A4252
	s_cselect_b32 s20, s36, s60                                // 00000000B974: 85143C24
	v_readlane_b32 s82, v3, 1                                  // 00000000B978: D2890052 00010303
	s_and_b32 s82, s82, 0xffffff                               // 00000000B980: 8652FF52 00FFFFFF
	s_cmp_lt_u32 s82, s66                                      // 00000000B988: BF0A4252
	s_cselect_b32 s21, s36, s60                                // 00000000B98C: 85153C24
	s_mov_b64 exec, s[20:21]                                   // 00000000B990: BEFE0114
	global_atomic_add_f32 v6, v54, s[8:9] offset:8             // 00000000B994: DD348008 00083606
	global_atomic_add_f32 v6, v58, s[8:9] offset:264           // 00000000B99C: DD348108 00083A06
	global_atomic_add_f32 v6, v62, s[8:9] offset:520           // 00000000B9A4: DD348208 00083E06
	global_atomic_add_f32 v6, v66, s[8:9] offset:776           // 00000000B9AC: DD348308 00084206
	global_atomic_add_f32 v6, v70, s[8:9] offset:1032          // 00000000B9B4: DD348408 00084606
	global_atomic_add_f32 v6, v74, s[8:9] offset:1288          // 00000000B9BC: DD348508 00084A06
	s_mov_b64 exec, s[36:37]                                   // 00000000B9C4: BEFE0124
	v_mov_b32_e32 v6, v40                                      // 00000000B9C8: 7E0C0328
	s_mov_b64 s[60:61], 0                                      // 00000000B9CC: BEBC0180
	v_readlane_b32 s82, v3, 2                                  // 00000000B9D0: D2890052 00010503
	s_and_b32 s82, s82, 0xffffff                               // 00000000B9D8: 8652FF52 00FFFFFF
	s_cmp_lt_u32 s82, s66                                      // 00000000B9E0: BF0A4252
	s_cselect_b32 s20, s36, s60                                // 00000000B9E4: 85143C24
	v_readlane_b32 s82, v3, 3                                  // 00000000B9E8: D2890052 00010703
	s_and_b32 s82, s82, 0xffffff                               // 00000000B9F0: 8652FF52 00FFFFFF
	s_cmp_lt_u32 s82, s66                                      // 00000000B9F8: BF0A4252
	s_cselect_b32 s21, s36, s60                                // 00000000B9FC: 85153C24
	s_mov_b64 exec, s[20:21]                                   // 00000000BA00: BEFE0114
	global_atomic_add_f32 v6, v55, s[8:9] offset:8             // 00000000BA04: DD348008 00083706
	global_atomic_add_f32 v6, v59, s[8:9] offset:264           // 00000000BA0C: DD348108 00083B06
	global_atomic_add_f32 v6, v63, s[8:9] offset:520           // 00000000BA14: DD348208 00083F06
	global_atomic_add_f32 v6, v67, s[8:9] offset:776           // 00000000BA1C: DD348308 00084306
	global_atomic_add_f32 v6, v71, s[8:9] offset:1032          // 00000000BA24: DD348408 00084706
	global_atomic_add_f32 v6, v75, s[8:9] offset:1288          // 00000000BA2C: DD348508 00084B06
	s_mov_b64 exec, s[36:37]                                   // 00000000BA34: BEFE0124
	v_mov_b32_e32 v6, v41                                      // 00000000BA38: 7E0C0329
	s_mov_b64 s[60:61], 0                                      // 00000000BA3C: BEBC0180
	v_readlane_b32 s82, v3, 4                                  // 00000000BA40: D2890052 00010903
	s_and_b32 s82, s82, 0xffffff                               // 00000000BA48: 8652FF52 00FFFFFF
	s_cmp_lt_u32 s82, s66                                      // 00000000BA50: BF0A4252
	s_cselect_b32 s20, s36, s60                                // 00000000BA54: 85143C24
	v_readlane_b32 s82, v3, 5                                  // 00000000BA58: D2890052 00010B03
	s_and_b32 s82, s82, 0xffffff                               // 00000000BA60: 8652FF52 00FFFFFF
	s_cmp_lt_u32 s82, s66                                      // 00000000BA68: BF0A4252
	s_cselect_b32 s21, s36, s60                                // 00000000BA6C: 85153C24
	s_mov_b64 exec, s[20:21]                                   // 00000000BA70: BEFE0114
	global_atomic_add_f32 v6, v78, s[8:9] offset:8             // 00000000BA74: DD348008 00084E06
	global_atomic_add_f32 v6, v82, s[8:9] offset:264           // 00000000BA7C: DD348108 00085206
	global_atomic_add_f32 v6, v86, s[8:9] offset:520           // 00000000BA84: DD348208 00085606
	global_atomic_add_f32 v6, v90, s[8:9] offset:776           // 00000000BA8C: DD348308 00085A06
	global_atomic_add_f32 v6, v94, s[8:9] offset:1032          // 00000000BA94: DD348408 00085E06
	global_atomic_add_f32 v6, v98, s[8:9] offset:1288          // 00000000BA9C: DD348508 00086206
	s_mov_b64 exec, s[36:37]                                   // 00000000BAA4: BEFE0124
	v_mov_b32_e32 v6, v42                                      // 00000000BAA8: 7E0C032A
	s_mov_b64 s[60:61], 0                                      // 00000000BAAC: BEBC0180
	v_readlane_b32 s82, v3, 6                                  // 00000000BAB0: D2890052 00010D03
	s_and_b32 s82, s82, 0xffffff                               // 00000000BAB8: 8652FF52 00FFFFFF
	s_cmp_lt_u32 s82, s66                                      // 00000000BAC0: BF0A4252
	s_cselect_b32 s20, s36, s60                                // 00000000BAC4: 85143C24
	v_readlane_b32 s82, v3, 7                                  // 00000000BAC8: D2890052 00010F03
	s_and_b32 s82, s82, 0xffffff                               // 00000000BAD0: 8652FF52 00FFFFFF
	s_cmp_lt_u32 s82, s66                                      // 00000000BAD8: BF0A4252
	s_cselect_b32 s21, s36, s60                                // 00000000BADC: 85153C24
	s_mov_b64 exec, s[20:21]                                   // 00000000BAE0: BEFE0114
	global_atomic_add_f32 v6, v79, s[8:9] offset:8             // 00000000BAE4: DD348008 00084F06
	global_atomic_add_f32 v6, v83, s[8:9] offset:264           // 00000000BAEC: DD348108 00085306
	global_atomic_add_f32 v6, v87, s[8:9] offset:520           // 00000000BAF4: DD348208 00085706
	global_atomic_add_f32 v6, v91, s[8:9] offset:776           // 00000000BAFC: DD348308 00085B06
	global_atomic_add_f32 v6, v95, s[8:9] offset:1032          // 00000000BB04: DD348408 00085F06
	global_atomic_add_f32 v6, v99, s[8:9] offset:1288          // 00000000BB0C: DD348508 00086306
	s_mov_b64 exec, s[36:37]                                   // 00000000BB14: BEFE0124
	ds_write_b64 v20, v[100:101]                               // 00000000BB18: D89A0000 00006414
	ds_write_b64 v20, v[104:105] offset:13056                  // 00000000BB20: D89A3300 00006814
	ds_write_b64 v20, v[108:109] offset:2176                   // 00000000BB28: D89A0880 00006C14
	ds_write_b64 v20, v[112:113] offset:15232                  // 00000000BB30: D89A3B80 00007014
	ds_write_b64 v20, v[116:117] offset:4352                   // 00000000BB38: D89A1100 00007414
	ds_write_b64 v20, v[120:121] offset:17408                  // 00000000BB40: D89A4400 00007814
	ds_write_b64 v20, v[124:125] offset:6528                   // 00000000BB48: D89A1980 00007C14
	ds_write_b64 v20, v[128:129] offset:19584                  // 00000000BB50: D89A4C80 00008014
	ds_write_b64 v20, v[132:133] offset:8704                   // 00000000BB58: D89A2200 00008414
	ds_write_b64 v20, v[136:137] offset:21760                  // 00000000BB60: D89A5500 00008814
	ds_write_b64 v20, v[140:141] offset:10880                  // 00000000BB68: D89A2A80 00008C14
	ds_write_b64 v20, v[144:145] offset:23936                  // 00000000BB70: D89A5D80 00009014
	s_waitcnt lgkmcnt(0)                                       // 00000000BB78: BF8CC07F
	s_barrier                                                  // 00000000BB7C: BF8A0000
	ds_read_b32 v100, v21                                      // 00000000BB80: D86C0000 64000015
	ds_read_b32 v101, v21 offset:64                            // 00000000BB88: D86C0040 65000015
	ds_read_b32 v104, v21 offset:2176                          // 00000000BB90: D86C0880 68000015
	ds_read_b32 v105, v21 offset:2240                          // 00000000BB98: D86C08C0 69000015
	ds_read_b32 v108, v21 offset:4352                          // 00000000BBA0: D86C1100 6C000015
	ds_read_b32 v109, v21 offset:4416                          // 00000000BBA8: D86C1140 6D000015
	ds_read_b32 v112, v21 offset:6528                          // 00000000BBB0: D86C1980 70000015
	ds_read_b32 v113, v21 offset:6592                          // 00000000BBB8: D86C19C0 71000015
	ds_read_b32 v116, v21 offset:8704                          // 00000000BBC0: D86C2200 74000015
	ds_read_b32 v117, v21 offset:8768                          // 00000000BBC8: D86C2240 75000015
	ds_read_b32 v120, v21 offset:10880                         // 00000000BBD0: D86C2A80 78000015
	ds_read_b32 v121, v21 offset:10944                         // 00000000BBD8: D86C2AC0 79000015
	ds_read_b32 v124, v21 offset:13056                         // 00000000BBE0: D86C3300 7C000015
	ds_read_b32 v125, v21 offset:13120                         // 00000000BBE8: D86C3340 7D000015
	ds_read_b32 v128, v21 offset:15232                         // 00000000BBF0: D86C3B80 80000015
	ds_read_b32 v129, v21 offset:15296                         // 00000000BBF8: D86C3BC0 81000015
	ds_read_b32 v132, v21 offset:17408                         // 00000000BC00: D86C4400 84000015
	ds_read_b32 v133, v21 offset:17472                         // 00000000BC08: D86C4440 85000015
	ds_read_b32 v136, v21 offset:19584                         // 00000000BC10: D86C4C80 88000015
	ds_read_b32 v137, v21 offset:19648                         // 00000000BC18: D86C4CC0 89000015
	ds_read_b32 v140, v21 offset:21760                         // 00000000BC20: D86C5500 8C000015
	ds_read_b32 v141, v21 offset:21824                         // 00000000BC28: D86C5540 8D000015
	ds_read_b32 v144, v21 offset:23936                         // 00000000BC30: D86C5D80 90000015
	ds_read_b32 v145, v21 offset:24000                         // 00000000BC38: D86C5DC0 91000015
	s_mul_i32 s60, s65, 4                                      // 00000000BC40: 923C8441
	s_add_u32 s8, s60, s8                                      // 00000000BC44: 8008083C
	s_addc_u32 s9, 0, s9                                       // 00000000BC48: 82090980
	s_waitcnt lgkmcnt(0)                                       // 00000000BC4C: BF8CC07F
	v_mov_b32_e32 v7, 0                                        // 00000000BC50: 7E0E0280
	s_mov_b64 exec, s[36:37]                                   // 00000000BC54: BEFE0124
	v_mov_b32_e32 v6, v39                                      // 00000000BC58: 7E0C0327
	s_mov_b64 s[60:61], 0                                      // 00000000BC5C: BEBC0180
	v_readlane_b32 s82, v3, 0                                  // 00000000BC60: D2890052 00010103
	s_and_b32 s82, s82, 0xffffff                               // 00000000BC68: 8652FF52 00FFFFFF
	s_cmp_lt_u32 s82, s66                                      // 00000000BC70: BF0A4252
	s_cselect_b32 s20, s36, s60                                // 00000000BC74: 85143C24
	v_readlane_b32 s82, v3, 1                                  // 00000000BC78: D2890052 00010303
	s_and_b32 s82, s82, 0xffffff                               // 00000000BC80: 8652FF52 00FFFFFF
	s_cmp_lt_u32 s82, s66                                      // 00000000BC88: BF0A4252
	s_cselect_b32 s21, s36, s60                                // 00000000BC8C: 85153C24
	s_mov_b64 exec, s[20:21]                                   // 00000000BC90: BEFE0114
	global_atomic_add_f32 v6, v100, s[8:9]                     // 00000000BC94: DD348000 00086406
	global_atomic_add_f32 v6, v104, s[8:9] offset:256          // 00000000BC9C: DD348100 00086806
	global_atomic_add_f32 v6, v108, s[8:9] offset:512          // 00000000BCA4: DD348200 00086C06
	global_atomic_add_f32 v6, v112, s[8:9] offset:768          // 00000000BCAC: DD348300 00087006
	global_atomic_add_f32 v6, v116, s[8:9] offset:1024         // 00000000BCB4: DD348400 00087406
	global_atomic_add_f32 v6, v120, s[8:9] offset:1280         // 00000000BCBC: DD348500 00087806
	s_mov_b64 exec, s[36:37]                                   // 00000000BCC4: BEFE0124
	v_mov_b32_e32 v6, v40                                      // 00000000BCC8: 7E0C0328
	s_mov_b64 s[60:61], 0                                      // 00000000BCCC: BEBC0180
	v_readlane_b32 s82, v3, 2                                  // 00000000BCD0: D2890052 00010503
	s_and_b32 s82, s82, 0xffffff                               // 00000000BCD8: 8652FF52 00FFFFFF
	s_cmp_lt_u32 s82, s66                                      // 00000000BCE0: BF0A4252
	s_cselect_b32 s20, s36, s60                                // 00000000BCE4: 85143C24
	v_readlane_b32 s82, v3, 3                                  // 00000000BCE8: D2890052 00010703
	s_and_b32 s82, s82, 0xffffff                               // 00000000BCF0: 8652FF52 00FFFFFF
	s_cmp_lt_u32 s82, s66                                      // 00000000BCF8: BF0A4252
	s_cselect_b32 s21, s36, s60                                // 00000000BCFC: 85153C24
	s_mov_b64 exec, s[20:21]                                   // 00000000BD00: BEFE0114
	global_atomic_add_f32 v6, v101, s[8:9]                     // 00000000BD04: DD348000 00086506
	global_atomic_add_f32 v6, v105, s[8:9] offset:256          // 00000000BD0C: DD348100 00086906
	global_atomic_add_f32 v6, v109, s[8:9] offset:512          // 00000000BD14: DD348200 00086D06
	global_atomic_add_f32 v6, v113, s[8:9] offset:768          // 00000000BD1C: DD348300 00087106
	global_atomic_add_f32 v6, v117, s[8:9] offset:1024         // 00000000BD24: DD348400 00087506
	global_atomic_add_f32 v6, v121, s[8:9] offset:1280         // 00000000BD2C: DD348500 00087906
	s_mov_b64 exec, s[36:37]                                   // 00000000BD34: BEFE0124
	v_mov_b32_e32 v6, v41                                      // 00000000BD38: 7E0C0329
	s_mov_b64 s[60:61], 0                                      // 00000000BD3C: BEBC0180
	v_readlane_b32 s82, v3, 4                                  // 00000000BD40: D2890052 00010903
	s_and_b32 s82, s82, 0xffffff                               // 00000000BD48: 8652FF52 00FFFFFF
	s_cmp_lt_u32 s82, s66                                      // 00000000BD50: BF0A4252
	s_cselect_b32 s20, s36, s60                                // 00000000BD54: 85143C24
	v_readlane_b32 s82, v3, 5                                  // 00000000BD58: D2890052 00010B03
	s_and_b32 s82, s82, 0xffffff                               // 00000000BD60: 8652FF52 00FFFFFF
	s_cmp_lt_u32 s82, s66                                      // 00000000BD68: BF0A4252
	s_cselect_b32 s21, s36, s60                                // 00000000BD6C: 85153C24
	s_mov_b64 exec, s[20:21]                                   // 00000000BD70: BEFE0114
	global_atomic_add_f32 v6, v124, s[8:9]                     // 00000000BD74: DD348000 00087C06
	global_atomic_add_f32 v6, v128, s[8:9] offset:256          // 00000000BD7C: DD348100 00088006
	global_atomic_add_f32 v6, v132, s[8:9] offset:512          // 00000000BD84: DD348200 00088406
	global_atomic_add_f32 v6, v136, s[8:9] offset:768          // 00000000BD8C: DD348300 00088806
	global_atomic_add_f32 v6, v140, s[8:9] offset:1024         // 00000000BD94: DD348400 00088C06
	global_atomic_add_f32 v6, v144, s[8:9] offset:1280         // 00000000BD9C: DD348500 00089006
	s_mov_b64 exec, s[36:37]                                   // 00000000BDA4: BEFE0124
	v_mov_b32_e32 v6, v42                                      // 00000000BDA8: 7E0C032A
	s_mov_b64 s[60:61], 0                                      // 00000000BDAC: BEBC0180
	v_readlane_b32 s82, v3, 6                                  // 00000000BDB0: D2890052 00010D03
	s_and_b32 s82, s82, 0xffffff                               // 00000000BDB8: 8652FF52 00FFFFFF
	s_cmp_lt_u32 s82, s66                                      // 00000000BDC0: BF0A4252
	s_cselect_b32 s20, s36, s60                                // 00000000BDC4: 85143C24
	v_readlane_b32 s82, v3, 7                                  // 00000000BDC8: D2890052 00010F03
	s_and_b32 s82, s82, 0xffffff                               // 00000000BDD0: 8652FF52 00FFFFFF
	s_cmp_lt_u32 s82, s66                                      // 00000000BDD8: BF0A4252
	s_cselect_b32 s21, s36, s60                                // 00000000BDDC: 85153C24
	s_mov_b64 exec, s[20:21]                                   // 00000000BDE0: BEFE0114
	global_atomic_add_f32 v6, v125, s[8:9]                     // 00000000BDE4: DD348000 00087D06
	global_atomic_add_f32 v6, v129, s[8:9] offset:256          // 00000000BDEC: DD348100 00088106
	global_atomic_add_f32 v6, v133, s[8:9] offset:512          // 00000000BDF4: DD348200 00088506
	global_atomic_add_f32 v6, v137, s[8:9] offset:768          // 00000000BDFC: DD348300 00088906
	global_atomic_add_f32 v6, v141, s[8:9] offset:1024         // 00000000BE04: DD348400 00088D06
	global_atomic_add_f32 v6, v145, s[8:9] offset:1280         // 00000000BE0C: DD348500 00089106
	s_mov_b64 exec, s[36:37]                                   // 00000000BE14: BEFE0124
	ds_write_b64 v20, v[102:103]                               // 00000000BE18: D89A0000 00006614
	ds_write_b64 v20, v[106:107] offset:13056                  // 00000000BE20: D89A3300 00006A14
	ds_write_b64 v20, v[110:111] offset:2176                   // 00000000BE28: D89A0880 00006E14
	ds_write_b64 v20, v[114:115] offset:15232                  // 00000000BE30: D89A3B80 00007214
	ds_write_b64 v20, v[118:119] offset:4352                   // 00000000BE38: D89A1100 00007614
	ds_write_b64 v20, v[122:123] offset:17408                  // 00000000BE40: D89A4400 00007A14
	ds_write_b64 v20, v[126:127] offset:6528                   // 00000000BE48: D89A1980 00007E14
	ds_write_b64 v20, v[130:131] offset:19584                  // 00000000BE50: D89A4C80 00008214
	ds_write_b64 v20, v[134:135] offset:8704                   // 00000000BE58: D89A2200 00008614
	ds_write_b64 v20, v[138:139] offset:21760                  // 00000000BE60: D89A5500 00008A14
	ds_write_b64 v20, v[142:143] offset:10880                  // 00000000BE68: D89A2A80 00008E14
	ds_write_b64 v20, v[146:147] offset:23936                  // 00000000BE70: D89A5D80 00009214
	s_waitcnt lgkmcnt(0)                                       // 00000000BE78: BF8CC07F
	s_barrier                                                  // 00000000BE7C: BF8A0000
	ds_read_b32 v102, v21                                      // 00000000BE80: D86C0000 66000015
	ds_read_b32 v103, v21 offset:64                            // 00000000BE88: D86C0040 67000015
	ds_read_b32 v106, v21 offset:2176                          // 00000000BE90: D86C0880 6A000015
	ds_read_b32 v107, v21 offset:2240                          // 00000000BE98: D86C08C0 6B000015
	ds_read_b32 v110, v21 offset:4352                          // 00000000BEA0: D86C1100 6E000015
	ds_read_b32 v111, v21 offset:4416                          // 00000000BEA8: D86C1140 6F000015
	ds_read_b32 v114, v21 offset:6528                          // 00000000BEB0: D86C1980 72000015
	ds_read_b32 v115, v21 offset:6592                          // 00000000BEB8: D86C19C0 73000015
	ds_read_b32 v118, v21 offset:8704                          // 00000000BEC0: D86C2200 76000015
	ds_read_b32 v119, v21 offset:8768                          // 00000000BEC8: D86C2240 77000015
	ds_read_b32 v122, v21 offset:10880                         // 00000000BED0: D86C2A80 7A000015
	ds_read_b32 v123, v21 offset:10944                         // 00000000BED8: D86C2AC0 7B000015
	ds_read_b32 v126, v21 offset:13056                         // 00000000BEE0: D86C3300 7E000015
	ds_read_b32 v127, v21 offset:13120                         // 00000000BEE8: D86C3340 7F000015
	ds_read_b32 v130, v21 offset:15232                         // 00000000BEF0: D86C3B80 82000015
	ds_read_b32 v131, v21 offset:15296                         // 00000000BEF8: D86C3BC0 83000015
	ds_read_b32 v134, v21 offset:17408                         // 00000000BF00: D86C4400 86000015
	ds_read_b32 v135, v21 offset:17472                         // 00000000BF08: D86C4440 87000015
	ds_read_b32 v138, v21 offset:19584                         // 00000000BF10: D86C4C80 8A000015
	ds_read_b32 v139, v21 offset:19648                         // 00000000BF18: D86C4CC0 8B000015
	ds_read_b32 v142, v21 offset:21760                         // 00000000BF20: D86C5500 8E000015
	ds_read_b32 v143, v21 offset:21824                         // 00000000BF28: D86C5540 8F000015
	ds_read_b32 v146, v21 offset:23936                         // 00000000BF30: D86C5D80 92000015
	ds_read_b32 v147, v21 offset:24000                         // 00000000BF38: D86C5DC0 93000015
	s_waitcnt lgkmcnt(0)                                       // 00000000BF40: BF8CC07F
	v_mov_b32_e32 v7, 0                                        // 00000000BF44: 7E0E0280
	s_mov_b64 exec, s[36:37]                                   // 00000000BF48: BEFE0124
	v_mov_b32_e32 v6, v39                                      // 00000000BF4C: 7E0C0327
	s_mov_b64 s[60:61], 0                                      // 00000000BF50: BEBC0180
	v_readlane_b32 s82, v3, 0                                  // 00000000BF54: D2890052 00010103
	s_and_b32 s82, s82, 0xffffff                               // 00000000BF5C: 8652FF52 00FFFFFF
	s_cmp_lt_u32 s82, s66                                      // 00000000BF64: BF0A4252
	s_cselect_b32 s20, s36, s60                                // 00000000BF68: 85143C24
	v_readlane_b32 s82, v3, 1                                  // 00000000BF6C: D2890052 00010303
	s_and_b32 s82, s82, 0xffffff                               // 00000000BF74: 8652FF52 00FFFFFF
	s_cmp_lt_u32 s82, s66                                      // 00000000BF7C: BF0A4252
	s_cselect_b32 s21, s36, s60                                // 00000000BF80: 85153C24
	s_mov_b64 exec, s[20:21]                                   // 00000000BF84: BEFE0114
	global_atomic_add_f32 v6, v102, s[8:9] offset:8            // 00000000BF88: DD348008 00086606
	global_atomic_add_f32 v6, v106, s[8:9] offset:264          // 00000000BF90: DD348108 00086A06
	global_atomic_add_f32 v6, v110, s[8:9] offset:520          // 00000000BF98: DD348208 00086E06
	global_atomic_add_f32 v6, v114, s[8:9] offset:776          // 00000000BFA0: DD348308 00087206
	global_atomic_add_f32 v6, v118, s[8:9] offset:1032         // 00000000BFA8: DD348408 00087606
	global_atomic_add_f32 v6, v122, s[8:9] offset:1288         // 00000000BFB0: DD348508 00087A06
	s_mov_b64 exec, s[36:37]                                   // 00000000BFB8: BEFE0124
	v_mov_b32_e32 v6, v40                                      // 00000000BFBC: 7E0C0328
	s_mov_b64 s[60:61], 0                                      // 00000000BFC0: BEBC0180
	v_readlane_b32 s82, v3, 2                                  // 00000000BFC4: D2890052 00010503
	s_and_b32 s82, s82, 0xffffff                               // 00000000BFCC: 8652FF52 00FFFFFF
	s_cmp_lt_u32 s82, s66                                      // 00000000BFD4: BF0A4252
	s_cselect_b32 s20, s36, s60                                // 00000000BFD8: 85143C24
	v_readlane_b32 s82, v3, 3                                  // 00000000BFDC: D2890052 00010703
	s_and_b32 s82, s82, 0xffffff                               // 00000000BFE4: 8652FF52 00FFFFFF
	s_cmp_lt_u32 s82, s66                                      // 00000000BFEC: BF0A4252
	s_cselect_b32 s21, s36, s60                                // 00000000BFF0: 85153C24
	s_mov_b64 exec, s[20:21]                                   // 00000000BFF4: BEFE0114
	global_atomic_add_f32 v6, v103, s[8:9] offset:8            // 00000000BFF8: DD348008 00086706
	global_atomic_add_f32 v6, v107, s[8:9] offset:264          // 00000000C000: DD348108 00086B06
	global_atomic_add_f32 v6, v111, s[8:9] offset:520          // 00000000C008: DD348208 00086F06
	global_atomic_add_f32 v6, v115, s[8:9] offset:776          // 00000000C010: DD348308 00087306
	global_atomic_add_f32 v6, v119, s[8:9] offset:1032         // 00000000C018: DD348408 00087706
	global_atomic_add_f32 v6, v123, s[8:9] offset:1288         // 00000000C020: DD348508 00087B06
	s_mov_b64 exec, s[36:37]                                   // 00000000C028: BEFE0124
	v_mov_b32_e32 v6, v41                                      // 00000000C02C: 7E0C0329
	s_mov_b64 s[60:61], 0                                      // 00000000C030: BEBC0180
	v_readlane_b32 s82, v3, 4                                  // 00000000C034: D2890052 00010903
	s_and_b32 s82, s82, 0xffffff                               // 00000000C03C: 8652FF52 00FFFFFF
	s_cmp_lt_u32 s82, s66                                      // 00000000C044: BF0A4252
	s_cselect_b32 s20, s36, s60                                // 00000000C048: 85143C24
	v_readlane_b32 s82, v3, 5                                  // 00000000C04C: D2890052 00010B03
	s_and_b32 s82, s82, 0xffffff                               // 00000000C054: 8652FF52 00FFFFFF
	s_cmp_lt_u32 s82, s66                                      // 00000000C05C: BF0A4252
	s_cselect_b32 s21, s36, s60                                // 00000000C060: 85153C24
	s_mov_b64 exec, s[20:21]                                   // 00000000C064: BEFE0114
	global_atomic_add_f32 v6, v126, s[8:9] offset:8            // 00000000C068: DD348008 00087E06
	global_atomic_add_f32 v6, v130, s[8:9] offset:264          // 00000000C070: DD348108 00088206
	global_atomic_add_f32 v6, v134, s[8:9] offset:520          // 00000000C078: DD348208 00088606
	global_atomic_add_f32 v6, v138, s[8:9] offset:776          // 00000000C080: DD348308 00088A06
	global_atomic_add_f32 v6, v142, s[8:9] offset:1032         // 00000000C088: DD348408 00088E06
	global_atomic_add_f32 v6, v146, s[8:9] offset:1288         // 00000000C090: DD348508 00089206
	s_mov_b64 exec, s[36:37]                                   // 00000000C098: BEFE0124
	v_mov_b32_e32 v6, v42                                      // 00000000C09C: 7E0C032A
	s_mov_b64 s[60:61], 0                                      // 00000000C0A0: BEBC0180
	v_readlane_b32 s82, v3, 6                                  // 00000000C0A4: D2890052 00010D03
	s_and_b32 s82, s82, 0xffffff                               // 00000000C0AC: 8652FF52 00FFFFFF
	s_cmp_lt_u32 s82, s66                                      // 00000000C0B4: BF0A4252
	s_cselect_b32 s20, s36, s60                                // 00000000C0B8: 85143C24
	v_readlane_b32 s82, v3, 7                                  // 00000000C0BC: D2890052 00010F03
	s_and_b32 s82, s82, 0xffffff                               // 00000000C0C4: 8652FF52 00FFFFFF
	s_cmp_lt_u32 s82, s66                                      // 00000000C0CC: BF0A4252
	s_cselect_b32 s21, s36, s60                                // 00000000C0D0: 85153C24
	s_mov_b64 exec, s[20:21]                                   // 00000000C0D4: BEFE0114
	global_atomic_add_f32 v6, v127, s[8:9] offset:8            // 00000000C0D8: DD348008 00087F06
	global_atomic_add_f32 v6, v131, s[8:9] offset:264          // 00000000C0E0: DD348108 00088306
	global_atomic_add_f32 v6, v135, s[8:9] offset:520          // 00000000C0E8: DD348208 00088706
	global_atomic_add_f32 v6, v139, s[8:9] offset:776          // 00000000C0F0: DD348308 00088B06
	global_atomic_add_f32 v6, v143, s[8:9] offset:1032         // 00000000C0F8: DD348408 00088F06
	global_atomic_add_f32 v6, v147, s[8:9] offset:1288         // 00000000C100: DD348508 00089306
	s_mov_b64 exec, s[36:37]                                   // 00000000C108: BEFE0124
	s_branch label_2547                                        // 00000000C10C: BF820000

000000000000c110 <label_2547>:
	s_waitcnt vmcnt(0) expcnt(0) lgkmcnt(0)                    // 00000000C110: BF8C0000
	s_endpgm                                                   // 00000000C114: BF810000
